;; amdgpu-corpus repo=pytorch/pytorch kind=compiled arch=gfx906 opt=O3
	.amdgcn_target "amdgcn-amd-amdhsa--gfx906"
	.amdhsa_code_object_version 6
	.section	.text._ZN2at6native12_GLOBAL__N_136fractional_max_pool2d_out_cuda_frameIdEEvN5torch10headeronly6detail27GenericPackedTensorAccessorINS5_14TensorAccessorIN3c108ArrayRefIlEET_Lm3ENS4_16DefaultPtrTraitsElEENS_6detail16IndexBoundsCheckILm4ElEESB_Lm4ESC_lEENS6_INS7_ISA_lLm3ESC_lEESG_lLm4ESC_lEENS6_INS7_ISA_KSB_Lm3ESC_lEESG_SK_Lm4ESC_lEENS6_INS7_ISA_SK_Lm2ESC_lEENSF_ILm3ElEESK_Lm3ESC_lEEii,"axG",@progbits,_ZN2at6native12_GLOBAL__N_136fractional_max_pool2d_out_cuda_frameIdEEvN5torch10headeronly6detail27GenericPackedTensorAccessorINS5_14TensorAccessorIN3c108ArrayRefIlEET_Lm3ENS4_16DefaultPtrTraitsElEENS_6detail16IndexBoundsCheckILm4ElEESB_Lm4ESC_lEENS6_INS7_ISA_lLm3ESC_lEESG_lLm4ESC_lEENS6_INS7_ISA_KSB_Lm3ESC_lEESG_SK_Lm4ESC_lEENS6_INS7_ISA_SK_Lm2ESC_lEENSF_ILm3ElEESK_Lm3ESC_lEEii,comdat
	.globl	_ZN2at6native12_GLOBAL__N_136fractional_max_pool2d_out_cuda_frameIdEEvN5torch10headeronly6detail27GenericPackedTensorAccessorINS5_14TensorAccessorIN3c108ArrayRefIlEET_Lm3ENS4_16DefaultPtrTraitsElEENS_6detail16IndexBoundsCheckILm4ElEESB_Lm4ESC_lEENS6_INS7_ISA_lLm3ESC_lEESG_lLm4ESC_lEENS6_INS7_ISA_KSB_Lm3ESC_lEESG_SK_Lm4ESC_lEENS6_INS7_ISA_SK_Lm2ESC_lEENSF_ILm3ElEESK_Lm3ESC_lEEii ; -- Begin function _ZN2at6native12_GLOBAL__N_136fractional_max_pool2d_out_cuda_frameIdEEvN5torch10headeronly6detail27GenericPackedTensorAccessorINS5_14TensorAccessorIN3c108ArrayRefIlEET_Lm3ENS4_16DefaultPtrTraitsElEENS_6detail16IndexBoundsCheckILm4ElEESB_Lm4ESC_lEENS6_INS7_ISA_lLm3ESC_lEESG_lLm4ESC_lEENS6_INS7_ISA_KSB_Lm3ESC_lEESG_SK_Lm4ESC_lEENS6_INS7_ISA_SK_Lm2ESC_lEENSF_ILm3ElEESK_Lm3ESC_lEEii
	.p2align	8
	.type	_ZN2at6native12_GLOBAL__N_136fractional_max_pool2d_out_cuda_frameIdEEvN5torch10headeronly6detail27GenericPackedTensorAccessorINS5_14TensorAccessorIN3c108ArrayRefIlEET_Lm3ENS4_16DefaultPtrTraitsElEENS_6detail16IndexBoundsCheckILm4ElEESB_Lm4ESC_lEENS6_INS7_ISA_lLm3ESC_lEESG_lLm4ESC_lEENS6_INS7_ISA_KSB_Lm3ESC_lEESG_SK_Lm4ESC_lEENS6_INS7_ISA_SK_Lm2ESC_lEENSF_ILm3ElEESK_Lm3ESC_lEEii,@function
_ZN2at6native12_GLOBAL__N_136fractional_max_pool2d_out_cuda_frameIdEEvN5torch10headeronly6detail27GenericPackedTensorAccessorINS5_14TensorAccessorIN3c108ArrayRefIlEET_Lm3ENS4_16DefaultPtrTraitsElEENS_6detail16IndexBoundsCheckILm4ElEESB_Lm4ESC_lEENS6_INS7_ISA_lLm3ESC_lEESG_lLm4ESC_lEENS6_INS7_ISA_KSB_Lm3ESC_lEESG_SK_Lm4ESC_lEENS6_INS7_ISA_SK_Lm2ESC_lEENSF_ILm3ElEESK_Lm3ESC_lEEii: ; @_ZN2at6native12_GLOBAL__N_136fractional_max_pool2d_out_cuda_frameIdEEvN5torch10headeronly6detail27GenericPackedTensorAccessorINS5_14TensorAccessorIN3c108ArrayRefIlEET_Lm3ENS4_16DefaultPtrTraitsElEENS_6detail16IndexBoundsCheckILm4ElEESB_Lm4ESC_lEENS6_INS7_ISA_lLm3ESC_lEESG_lLm4ESC_lEENS6_INS7_ISA_KSB_Lm3ESC_lEESG_SK_Lm4ESC_lEENS6_INS7_ISA_SK_Lm2ESC_lEENSF_ILm3ElEESK_Lm3ESC_lEEii
; %bb.0:
	s_load_dword s0, s[4:5], 0x124
	s_load_dwordx4 s[12:15], s[4:5], 0x18
	s_waitcnt lgkmcnt(0)
	s_and_b32 s0, s0, 0xffff
	s_mul_i32 s6, s6, s0
	s_mul_i32 s0, s14, s13
	s_mul_hi_u32 s1, s14, s12
	v_add_u32_e32 v2, s6, v0
	s_add_i32 s0, s1, s0
	s_mul_i32 s1, s15, s12
	v_ashrrev_i32_e32 v3, 31, v2
	s_add_i32 s1, s0, s1
	s_mul_i32 s0, s14, s12
	v_cmp_gt_i64_e32 vcc, s[0:1], v[2:3]
	s_and_saveexec_b64 s[0:1], vcc
	s_cbranch_execz .LBB0_25
; %bb.1:
	v_or_b32_e32 v1, s15, v3
	v_mov_b32_e32 v0, 0
	v_cmp_ne_u64_e32 vcc, 0, v[0:1]
                                        ; implicit-def: $vgpr0_vgpr1
	s_and_saveexec_b64 s[0:1], vcc
	s_xor_b64 s[2:3], exec, s[0:1]
	s_cbranch_execz .LBB0_3
; %bb.2:
	s_ashr_i32 s10, s15, 31
	s_add_u32 s0, s14, s10
	s_mov_b32 s11, s10
	s_addc_u32 s1, s15, s10
	s_xor_b64 s[16:17], s[0:1], s[10:11]
	v_cvt_f32_u32_e32 v0, s16
	v_cvt_f32_u32_e32 v1, s17
	s_sub_u32 s6, 0, s16
	s_subb_u32 s9, 0, s17
	v_ashrrev_i32_e32 v6, 31, v3
	v_madmk_f32 v0, v1, 0x4f800000, v0
	v_rcp_f32_e32 v0, v0
	v_mul_f32_e32 v0, 0x5f7ffffc, v0
	v_mul_f32_e32 v1, 0x2f800000, v0
	v_trunc_f32_e32 v1, v1
	v_madmk_f32 v0, v1, 0xcf800000, v0
	v_cvt_u32_f32_e32 v1, v1
	v_cvt_u32_f32_e32 v0, v0
	v_readfirstlane_b32 s11, v1
	v_readfirstlane_b32 s0, v0
	s_mul_i32 s1, s6, s11
	s_mul_hi_u32 s18, s6, s0
	s_mul_i32 s13, s9, s0
	s_add_i32 s1, s18, s1
	s_add_i32 s1, s1, s13
	s_mul_i32 s19, s6, s0
	s_mul_i32 s18, s0, s1
	s_mul_hi_u32 s20, s0, s19
	s_mul_hi_u32 s13, s0, s1
	s_add_u32 s18, s20, s18
	s_addc_u32 s13, 0, s13
	s_mul_hi_u32 s21, s11, s19
	s_mul_i32 s19, s11, s19
	s_add_u32 s18, s18, s19
	s_mul_hi_u32 s20, s11, s1
	s_addc_u32 s13, s13, s21
	s_addc_u32 s18, s20, 0
	s_mul_i32 s1, s11, s1
	s_add_u32 s1, s13, s1
	s_addc_u32 s13, 0, s18
	s_add_u32 s18, s0, s1
	s_cselect_b64 s[0:1], -1, 0
	s_cmp_lg_u64 s[0:1], 0
	s_addc_u32 s11, s11, s13
	s_mul_i32 s0, s6, s11
	s_mul_hi_u32 s1, s6, s18
	s_add_i32 s0, s1, s0
	s_mul_i32 s9, s9, s18
	s_add_i32 s0, s0, s9
	s_mul_i32 s6, s6, s18
	s_mul_hi_u32 s9, s11, s6
	s_mul_i32 s13, s11, s6
	s_mul_i32 s20, s18, s0
	s_mul_hi_u32 s6, s18, s6
	s_mul_hi_u32 s19, s18, s0
	s_add_u32 s6, s6, s20
	s_addc_u32 s19, 0, s19
	s_add_u32 s6, s6, s13
	s_mul_hi_u32 s1, s11, s0
	s_addc_u32 s6, s19, s9
	s_addc_u32 s1, s1, 0
	s_mul_i32 s0, s11, s0
	s_add_u32 s0, s6, s0
	s_addc_u32 s6, 0, s1
	s_add_u32 s9, s18, s0
	s_cselect_b64 s[0:1], -1, 0
	s_cmp_lg_u64 s[0:1], 0
	v_add_co_u32_e32 v0, vcc, v2, v6
	s_addc_u32 s6, s11, s6
	v_xor_b32_e32 v7, v0, v6
	v_mad_u64_u32 v[0:1], s[0:1], v7, s6, 0
	v_mul_hi_u32 v5, v7, s9
	v_addc_co_u32_e32 v4, vcc, v3, v6, vcc
	v_xor_b32_e32 v8, v4, v6
	v_add_co_u32_e32 v9, vcc, v5, v0
	v_addc_co_u32_e32 v10, vcc, 0, v1, vcc
	v_mad_u64_u32 v[0:1], s[0:1], v8, s9, 0
	v_mad_u64_u32 v[4:5], s[0:1], v8, s6, 0
	v_add_co_u32_e32 v0, vcc, v9, v0
	v_addc_co_u32_e32 v0, vcc, v10, v1, vcc
	v_addc_co_u32_e32 v1, vcc, 0, v5, vcc
	v_add_co_u32_e32 v4, vcc, v0, v4
	v_addc_co_u32_e32 v5, vcc, 0, v1, vcc
	v_mul_lo_u32 v9, s17, v4
	v_mul_lo_u32 v10, s16, v5
	v_mad_u64_u32 v[0:1], s[0:1], s16, v4, 0
	v_add3_u32 v1, v1, v10, v9
	v_sub_u32_e32 v9, v8, v1
	v_mov_b32_e32 v10, s17
	v_sub_co_u32_e32 v0, vcc, v7, v0
	v_subb_co_u32_e64 v7, s[0:1], v9, v10, vcc
	v_subrev_co_u32_e64 v9, s[0:1], s16, v0
	v_subbrev_co_u32_e64 v7, s[0:1], 0, v7, s[0:1]
	v_cmp_le_u32_e64 s[0:1], s17, v7
	v_cndmask_b32_e64 v10, 0, -1, s[0:1]
	v_cmp_le_u32_e64 s[0:1], s16, v9
	v_cndmask_b32_e64 v9, 0, -1, s[0:1]
	v_cmp_eq_u32_e64 s[0:1], s17, v7
	v_cndmask_b32_e64 v7, v10, v9, s[0:1]
	v_add_co_u32_e64 v9, s[0:1], 2, v4
	v_subb_co_u32_e32 v1, vcc, v8, v1, vcc
	v_addc_co_u32_e64 v10, s[0:1], 0, v5, s[0:1]
	v_cmp_le_u32_e32 vcc, s17, v1
	v_add_co_u32_e64 v11, s[0:1], 1, v4
	v_cndmask_b32_e64 v8, 0, -1, vcc
	v_cmp_le_u32_e32 vcc, s16, v0
	v_addc_co_u32_e64 v12, s[0:1], 0, v5, s[0:1]
	v_cndmask_b32_e64 v0, 0, -1, vcc
	v_cmp_eq_u32_e32 vcc, s17, v1
	v_cmp_ne_u32_e64 s[0:1], 0, v7
	v_cndmask_b32_e32 v0, v8, v0, vcc
	v_cndmask_b32_e64 v7, v12, v10, s[0:1]
	v_cmp_ne_u32_e32 vcc, 0, v0
	v_cndmask_b32_e64 v1, v11, v9, s[0:1]
	v_cndmask_b32_e32 v0, v5, v7, vcc
	v_cndmask_b32_e32 v1, v4, v1, vcc
	v_xor_b32_e32 v4, s10, v6
	v_xor_b32_e32 v5, v0, v4
	;; [unrolled: 1-line block ×3, first 2 shown]
	v_sub_co_u32_e32 v0, vcc, v0, v4
	v_subb_co_u32_e32 v1, vcc, v5, v4, vcc
.LBB0_3:
	s_andn2_saveexec_b64 s[0:1], s[2:3]
	s_cbranch_execz .LBB0_5
; %bb.4:
	v_cvt_f32_u32_e32 v0, s14
	s_sub_i32 s2, 0, s14
	v_rcp_iflag_f32_e32 v0, v0
	v_mul_f32_e32 v0, 0x4f7ffffe, v0
	v_cvt_u32_f32_e32 v0, v0
	v_mul_lo_u32 v1, s2, v0
	v_mul_hi_u32 v1, v0, v1
	v_add_u32_e32 v0, v0, v1
	v_mul_hi_u32 v0, v2, v0
	v_mul_lo_u32 v1, v0, s14
	v_add_u32_e32 v4, 1, v0
	v_sub_u32_e32 v1, v2, v1
	v_subrev_u32_e32 v5, s14, v1
	v_cmp_le_u32_e32 vcc, s14, v1
	v_cndmask_b32_e32 v1, v1, v5, vcc
	v_cndmask_b32_e32 v0, v0, v4, vcc
	v_add_u32_e32 v4, 1, v0
	v_cmp_le_u32_e32 vcc, s14, v1
	v_cndmask_b32_e32 v0, v0, v4, vcc
	v_mov_b32_e32 v1, 0
.LBB0_5:
	s_or_b64 exec, exec, s[0:1]
	v_mad_u64_u32 v[4:5], s[0:1], v0, s14, 0
	s_load_dwordx2 s[20:21], s[4:5], 0x110
	s_load_dwordx4 s[0:3], s[4:5], 0xf8
	s_ashr_i32 s6, s8, 31
	s_load_dword s24, s[4:5], 0xb0
	s_load_dwordx2 s[10:11], s[4:5], 0xd8
	v_mul_lo_u32 v1, v1, s14
	v_mul_lo_u32 v6, v0, s15
	s_waitcnt lgkmcnt(0)
	s_mul_hi_u32 s9, s0, s8
	s_mul_i32 s13, s0, s6
	s_add_i32 s9, s9, s13
	s_mul_i32 s1, s1, s8
	s_add_i32 s1, s9, s1
	s_mul_i32 s0, s0, s8
	s_lshl_b64 s[0:1], s[0:1], 3
	s_add_u32 s10, s10, s0
	s_addc_u32 s11, s11, s1
	s_ashr_i32 s9, s7, 31
	s_mul_hi_u32 s0, s2, s7
	s_mul_i32 s1, s2, s9
	s_add_i32 s0, s0, s1
	s_mul_i32 s1, s3, s7
	s_add_i32 s1, s0, s1
	s_mul_i32 s0, s2, s7
	s_lshl_b64 s[0:1], s[0:1], 3
	v_add3_u32 v1, v5, v6, v1
	v_sub_co_u32_e32 v11, vcc, v2, v4
	s_add_u32 s0, s10, s0
	v_subb_co_u32_e32 v12, vcc, v3, v1, vcc
	s_addc_u32 s1, s11, s1
	s_sub_i32 s10, s24, s21
	s_add_i32 s11, s14, -1
	v_cmp_ne_u32_e32 vcc, s11, v11
	v_mov_b32_e32 v13, s10
	s_and_saveexec_b64 s[2:3], vcc
	s_cbranch_execz .LBB0_7
; %bb.6:
	v_cvt_f64_i32_e32 v[1:2], s10
	v_cvt_f64_i32_e32 v[3:4], s11
	v_div_scale_f64 v[5:6], s[10:11], v[3:4], v[3:4], v[1:2]
	s_load_dwordx2 s[10:11], s[0:1], 0x0
	v_rcp_f64_e32 v[7:8], v[5:6]
	v_fma_f64 v[9:10], -v[5:6], v[7:8], 1.0
	v_fma_f64 v[7:8], v[7:8], v[9:10], v[7:8]
	v_div_scale_f64 v[9:10], vcc, v[1:2], v[3:4], v[1:2]
	v_fma_f64 v[13:14], -v[5:6], v[7:8], 1.0
	v_fma_f64 v[7:8], v[7:8], v[13:14], v[7:8]
	v_mul_f64 v[13:14], v[9:10], v[7:8]
	v_fma_f64 v[5:6], -v[5:6], v[13:14], v[9:10]
	v_div_fmas_f64 v[5:6], v[5:6], v[7:8], v[13:14]
	v_cvt_f64_i32_e32 v[7:8], v11
	s_waitcnt lgkmcnt(0)
	v_add_f64 v[7:8], s[10:11], v[7:8]
	v_div_fixup_f64 v[1:2], v[5:6], v[3:4], v[1:2]
	v_mul_f64 v[3:4], v[1:2], v[7:8]
	v_mul_f64 v[1:2], v[1:2], s[10:11]
	v_cvt_i32_f64_e32 v3, v[3:4]
	v_cvt_i32_f64_e32 v1, v[1:2]
	v_sub_u32_e32 v13, v3, v1
.LBB0_7:
	s_or_b64 exec, exec, s[2:3]
	s_load_dword s2, s[4:5], 0xa8
	s_add_i32 s10, s12, -1
	v_cmp_ne_u32_e32 vcc, s10, v0
	s_waitcnt lgkmcnt(0)
	s_sub_i32 s11, s2, s20
	v_mov_b32_e32 v14, s11
	s_and_saveexec_b64 s[2:3], vcc
	s_cbranch_execz .LBB0_9
; %bb.8:
	v_cvt_f64_i32_e32 v[1:2], s11
	v_cvt_f64_i32_e32 v[3:4], s10
	v_div_scale_f64 v[5:6], s[10:11], v[3:4], v[3:4], v[1:2]
	s_load_dwordx2 s[10:11], s[4:5], 0x108
	s_waitcnt lgkmcnt(0)
	s_lshl_b64 s[10:11], s[10:11], 3
	s_add_u32 s0, s0, s10
	s_addc_u32 s1, s1, s11
	s_load_dwordx2 s[0:1], s[0:1], 0x0
	v_rcp_f64_e32 v[7:8], v[5:6]
	v_fma_f64 v[9:10], -v[5:6], v[7:8], 1.0
	v_fma_f64 v[7:8], v[7:8], v[9:10], v[7:8]
	v_div_scale_f64 v[9:10], vcc, v[1:2], v[3:4], v[1:2]
	v_fma_f64 v[14:15], -v[5:6], v[7:8], 1.0
	v_fma_f64 v[7:8], v[7:8], v[14:15], v[7:8]
	v_mul_f64 v[14:15], v[9:10], v[7:8]
	v_fma_f64 v[5:6], -v[5:6], v[14:15], v[9:10]
	v_div_fmas_f64 v[5:6], v[5:6], v[7:8], v[14:15]
	v_cvt_f64_i32_e32 v[7:8], v0
	s_waitcnt lgkmcnt(0)
	v_add_f64 v[7:8], s[0:1], v[7:8]
	v_div_fixup_f64 v[1:2], v[5:6], v[3:4], v[1:2]
	v_mul_f64 v[3:4], v[1:2], v[7:8]
	v_mul_f64 v[1:2], v[1:2], s[0:1]
	v_cvt_i32_f64_e32 v3, v[3:4]
	v_cvt_i32_f64_e32 v1, v[1:2]
	v_sub_u32_e32 v14, v3, v1
.LBB0_9:
	s_or_b64 exec, exec, s[2:3]
	v_mul_lo_u32 v15, v14, s24
	s_cmp_lt_i32 s20, 1
	v_add_u32_e32 v1, v15, v13
	s_cbranch_scc1 .LBB0_23
; %bb.10:
	s_load_dwordx8 s[12:19], s[4:5], 0xb8
	s_add_i32 s0, s21, -8
	v_ashrrev_i32_e32 v2, 31, v13
	s_cmp_gt_u32 s0, -7
	v_add_u32_e32 v16, s20, v14
	s_waitcnt lgkmcnt(0)
	v_mul_lo_u32 v4, s19, v13
	v_mul_lo_u32 v5, s18, v2
	v_mad_u64_u32 v[2:3], s[2:3], s18, v13, 0
	s_cselect_b64 s[0:1], -1, 0
	s_cmp_gt_i32 s21, 0
	s_mul_i32 s20, s14, s9
	s_mul_hi_u32 s22, s14, s7
	s_cselect_b64 s[2:3], -1, 0
	s_add_i32 s20, s22, s20
	s_mul_i32 s15, s15, s7
	s_add_i32 s15, s20, s15
	s_mul_i32 s14, s14, s7
	v_add3_u32 v3, v3, v5, v4
	s_lshl_b64 s[22:23], s[14:15], 3
	s_mul_i32 s14, s12, s6
	s_mul_hi_u32 s15, s12, s8
	v_ashrrev_i32_e32 v4, 31, v14
	s_add_i32 s20, s15, s14
	s_mul_i32 s13, s13, s8
	v_mul_lo_u32 v6, s17, v14
	v_mul_lo_u32 v7, s16, v4
	v_mad_u64_u32 v[4:5], s[14:15], s16, v14, 0
	s_add_i32 s13, s20, s13
	s_mul_i32 s12, s12, s8
	s_lshl_b64 s[12:13], s[12:13], 3
	s_lshl_b64 s[14:15], s[16:17], 3
	;; [unrolled: 1-line block ×3, first 2 shown]
	v_lshlrev_b64 v[2:3], 3, v[2:3]
	s_add_u32 s12, s12, s22
	s_load_dwordx2 s[10:11], s[4:5], 0x90
	v_add3_u32 v5, v5, v7, v6
	s_addc_u32 s13, s13, s23
	v_lshlrev_b64 v[4:5], 3, v[4:5]
	v_mov_b32_e32 v6, s13
	v_add_co_u32_e32 v2, vcc, s12, v2
	v_addc_co_u32_e32 v3, vcc, v6, v3, vcc
	v_add_co_u32_e32 v2, vcc, v2, v4
	v_addc_co_u32_e32 v3, vcc, v3, v5, vcc
	s_waitcnt lgkmcnt(0)
	v_add_co_u32_e32 v5, vcc, s10, v2
	v_cndmask_b32_e64 v2, 0, 1, s[0:1]
	v_mov_b32_e32 v4, s11
	v_mov_b32_e32 v7, 0
	v_cmp_ne_u32_e64 s[0:1], 1, v2
	v_cndmask_b32_e64 v2, 0, 1, s[2:3]
	v_add_u32_e32 v17, s21, v13
	v_addc_co_u32_e32 v6, vcc, v4, v3, vcc
	v_mov_b32_e32 v8, 0xfff00000
	s_mov_b64 s[18:19], 0
	v_cmp_ne_u32_e64 s[2:3], 1, v2
	v_mov_b32_e32 v18, v1
	s_branch .LBB0_13
.LBB0_11:                               ;   in Loop: Header=BB0_13 Depth=1
	v_mov_b32_e32 v3, v7
	v_mov_b32_e32 v2, v18
	;; [unrolled: 1-line block ×3, first 2 shown]
.LBB0_12:                               ;   in Loop: Header=BB0_13 Depth=1
	v_mov_b32_e32 v7, s15
	v_add_co_u32_e32 v5, vcc, s14, v5
	v_add_u32_e32 v14, 1, v14
	v_addc_co_u32_e32 v6, vcc, v6, v7, vcc
	v_cmp_ge_i32_e32 vcc, v14, v16
	v_mov_b32_e32 v8, v4
	v_add_u32_e32 v1, s24, v1
	v_add_u32_e32 v15, s24, v15
	s_or_b64 s[18:19], vcc, s[18:19]
	v_mov_b32_e32 v7, v3
	v_mov_b32_e32 v18, v2
	s_andn2_b64 exec, exec, s[18:19]
	s_cbranch_execz .LBB0_22
.LBB0_13:                               ; =>This Loop Header: Depth=1
                                        ;     Child Loop BB0_15 Depth 2
                                        ;     Child Loop BB0_20 Depth 2
	s_and_b64 vcc, exec, s[0:1]
	s_mov_b64 s[10:11], -1
                                        ; implicit-def: $vgpr3_vgpr4
                                        ; implicit-def: $vgpr2
	s_cbranch_vccnz .LBB0_17
; %bb.14:                               ;   in Loop: Header=BB0_13 Depth=1
	v_mov_b32_e32 v3, v7
	v_mov_b32_e32 v10, v6
	s_and_b64 vcc, exec, s[2:3]
	v_mov_b32_e32 v4, v8
	v_mov_b32_e32 v2, v18
	;; [unrolled: 1-line block ×4, first 2 shown]
	s_mov_b32 s20, s21
	s_cbranch_vccnz .LBB0_16
.LBB0_15:                               ;   Parent Loop BB0_13 Depth=1
                                        ; =>  This Inner Loop Header: Depth=2
	global_load_dwordx2 v[20:21], v[9:10], off
	s_add_i32 s20, s20, -1
	v_mov_b32_e32 v22, s17
	v_add_co_u32_e64 v9, s[12:13], s16, v9
	v_addc_co_u32_e64 v10, s[12:13], v10, v22, s[12:13]
	s_waitcnt vmcnt(0)
	v_cmp_gt_f64_e32 vcc, v[20:21], v[3:4]
	v_cmp_u_f64_e64 s[10:11], v[20:21], v[20:21]
	s_or_b64 vcc, vcc, s[10:11]
	v_cndmask_b32_e32 v2, v2, v19, vcc
	v_add_u32_e32 v19, 1, v19
	v_cndmask_b32_e32 v4, v4, v21, vcc
	s_cmp_lg_u32 s20, 0
	v_cndmask_b32_e32 v3, v3, v20, vcc
	s_cbranch_scc1 .LBB0_15
.LBB0_16:                               ;   in Loop: Header=BB0_13 Depth=1
	s_mov_b64 s[10:11], 0
.LBB0_17:                               ;   in Loop: Header=BB0_13 Depth=1
	s_andn2_b64 vcc, exec, s[10:11]
	s_cbranch_vccnz .LBB0_12
; %bb.18:                               ;   in Loop: Header=BB0_13 Depth=1
	s_and_b64 vcc, exec, s[2:3]
	s_cbranch_vccnz .LBB0_11
; %bb.19:                               ;   in Loop: Header=BB0_13 Depth=1
	v_mov_b32_e32 v2, v5
	s_mov_b64 s[22:23], 0
	v_mov_b32_e32 v3, v6
	v_mov_b32_e32 v4, v13
.LBB0_20:                               ;   Parent Loop BB0_13 Depth=1
                                        ; =>  This Inner Loop Header: Depth=2
	global_load_dwordx2 v[9:10], v[2:3], off
	v_mov_b32_e32 v20, s17
	v_add_co_u32_e64 v2, s[12:13], s16, v2
	v_add_u32_e32 v19, v15, v4
	v_add_u32_e32 v4, 1, v4
	v_addc_co_u32_e64 v3, s[12:13], v3, v20, s[12:13]
	v_cmp_ge_i32_e64 s[12:13], v4, v17
	s_waitcnt vmcnt(0)
	v_cmp_gt_f64_e32 vcc, v[9:10], v[7:8]
	v_cmp_u_f64_e64 s[10:11], v[9:10], v[9:10]
	s_or_b64 vcc, vcc, s[10:11]
	v_cndmask_b32_e32 v18, v18, v19, vcc
	v_cndmask_b32_e32 v8, v8, v10, vcc
	s_or_b64 s[22:23], s[12:13], s[22:23]
	v_cndmask_b32_e32 v7, v7, v9, vcc
	s_andn2_b64 exec, exec, s[22:23]
	s_cbranch_execnz .LBB0_20
; %bb.21:                               ;   in Loop: Header=BB0_13 Depth=1
	s_or_b64 exec, exec, s[22:23]
	s_branch .LBB0_11
.LBB0_22:
	s_or_b64 exec, exec, s[18:19]
	v_mov_b32_e32 v1, v2
	s_branch .LBB0_24
.LBB0_23:
	v_mov_b32_e32 v3, 0
	v_mov_b32_e32 v4, 0xfff00000
.LBB0_24:
	s_load_dwordx8 s[20:27], s[4:5], 0x70
	s_load_dwordx2 s[0:1], s[4:5], 0x0
	s_load_dwordx8 s[12:19], s[4:5], 0x28
	s_load_dwordx2 s[2:3], s[4:5], 0x48
	v_ashrrev_i32_e32 v9, 31, v0
	v_ashrrev_i32_e32 v2, 31, v1
	s_waitcnt lgkmcnt(0)
	s_mul_i32 s4, s20, s6
	s_mul_hi_u32 s5, s20, s8
	s_add_i32 s4, s5, s4
	s_mul_i32 s5, s21, s8
	s_add_i32 s5, s4, s5
	s_mul_i32 s4, s20, s8
	s_lshl_b64 s[4:5], s[4:5], 3
	s_add_u32 s10, s2, s4
	s_addc_u32 s11, s3, s5
	s_mul_i32 s2, s22, s9
	s_mul_hi_u32 s3, s22, s7
	s_add_i32 s2, s3, s2
	s_mul_i32 s3, s23, s7
	s_add_i32 s3, s2, s3
	s_mul_i32 s2, s22, s7
	v_mul_lo_u32 v7, s25, v0
	v_mul_lo_u32 v8, s24, v9
	v_mad_u64_u32 v[5:6], s[4:5], s24, v0, 0
	s_lshl_b64 s[2:3], s[2:3], 3
	s_add_u32 s4, s10, s2
	s_addc_u32 s2, s11, s3
	v_add3_u32 v6, v6, v8, v7
	v_mov_b32_e32 v10, s2
	v_mul_lo_u32 v13, s27, v11
	v_mul_lo_u32 v14, s26, v12
	v_mad_u64_u32 v[7:8], s[2:3], s26, v11, 0
	v_lshlrev_b64 v[5:6], 3, v[5:6]
	s_mul_i32 s2, s12, s6
	s_mul_hi_u32 s3, s12, s8
	s_add_i32 s2, s3, s2
	s_mul_i32 s3, s13, s8
	v_add_co_u32_e32 v15, vcc, s4, v5
	v_add3_u32 v8, v8, v14, v13
	s_add_i32 s3, s2, s3
	s_mul_i32 s2, s12, s8
	v_addc_co_u32_e32 v10, vcc, v10, v6, vcc
	v_lshlrev_b64 v[5:6], 3, v[7:8]
	s_lshl_b64 s[2:3], s[2:3], 3
	s_add_u32 s4, s0, s2
	v_add_co_u32_e32 v5, vcc, v15, v5
	s_addc_u32 s5, s1, s3
	s_mul_i32 s0, s14, s9
	s_mul_hi_u32 s1, s14, s7
	v_addc_co_u32_e32 v6, vcc, v10, v6, vcc
	s_add_i32 s0, s1, s0
	s_mul_i32 s1, s15, s7
	global_store_dwordx2 v[5:6], v[1:2], off
	s_add_i32 s1, s0, s1
	s_mul_i32 s0, s14, s7
	v_mul_lo_u32 v2, s17, v0
	v_mul_lo_u32 v5, s16, v9
	v_mad_u64_u32 v[0:1], s[2:3], s16, v0, 0
	s_lshl_b64 s[0:1], s[0:1], 3
	s_add_u32 s2, s4, s0
	s_addc_u32 s0, s5, s1
	v_add3_u32 v1, v1, v5, v2
	v_mov_b32_e32 v2, s0
	v_mul_lo_u32 v7, s19, v11
	v_mul_lo_u32 v8, s18, v12
	v_mad_u64_u32 v[5:6], s[0:1], s18, v11, 0
	v_lshlrev_b64 v[0:1], 3, v[0:1]
	v_add_co_u32_e32 v9, vcc, s2, v0
	v_add3_u32 v6, v6, v8, v7
	v_addc_co_u32_e32 v2, vcc, v2, v1, vcc
	v_lshlrev_b64 v[0:1], 3, v[5:6]
	v_add_co_u32_e32 v0, vcc, v9, v0
	v_addc_co_u32_e32 v1, vcc, v2, v1, vcc
	global_store_dwordx2 v[0:1], v[3:4], off
.LBB0_25:
	s_endpgm
	.section	.rodata,"a",@progbits
	.p2align	6, 0x0
	.amdhsa_kernel _ZN2at6native12_GLOBAL__N_136fractional_max_pool2d_out_cuda_frameIdEEvN5torch10headeronly6detail27GenericPackedTensorAccessorINS5_14TensorAccessorIN3c108ArrayRefIlEET_Lm3ENS4_16DefaultPtrTraitsElEENS_6detail16IndexBoundsCheckILm4ElEESB_Lm4ESC_lEENS6_INS7_ISA_lLm3ESC_lEESG_lLm4ESC_lEENS6_INS7_ISA_KSB_Lm3ESC_lEESG_SK_Lm4ESC_lEENS6_INS7_ISA_SK_Lm2ESC_lEENSF_ILm3ElEESK_Lm3ESC_lEEii
		.amdhsa_group_segment_fixed_size 0
		.amdhsa_private_segment_fixed_size 0
		.amdhsa_kernarg_size 536
		.amdhsa_user_sgpr_count 6
		.amdhsa_user_sgpr_private_segment_buffer 1
		.amdhsa_user_sgpr_dispatch_ptr 0
		.amdhsa_user_sgpr_queue_ptr 0
		.amdhsa_user_sgpr_kernarg_segment_ptr 1
		.amdhsa_user_sgpr_dispatch_id 0
		.amdhsa_user_sgpr_flat_scratch_init 0
		.amdhsa_user_sgpr_private_segment_size 0
		.amdhsa_uses_dynamic_stack 0
		.amdhsa_system_sgpr_private_segment_wavefront_offset 0
		.amdhsa_system_sgpr_workgroup_id_x 1
		.amdhsa_system_sgpr_workgroup_id_y 1
		.amdhsa_system_sgpr_workgroup_id_z 1
		.amdhsa_system_sgpr_workgroup_info 0
		.amdhsa_system_vgpr_workitem_id 0
		.amdhsa_next_free_vgpr 23
		.amdhsa_next_free_sgpr 28
		.amdhsa_reserve_vcc 1
		.amdhsa_reserve_flat_scratch 0
		.amdhsa_float_round_mode_32 0
		.amdhsa_float_round_mode_16_64 0
		.amdhsa_float_denorm_mode_32 3
		.amdhsa_float_denorm_mode_16_64 3
		.amdhsa_dx10_clamp 1
		.amdhsa_ieee_mode 1
		.amdhsa_fp16_overflow 0
		.amdhsa_exception_fp_ieee_invalid_op 0
		.amdhsa_exception_fp_denorm_src 0
		.amdhsa_exception_fp_ieee_div_zero 0
		.amdhsa_exception_fp_ieee_overflow 0
		.amdhsa_exception_fp_ieee_underflow 0
		.amdhsa_exception_fp_ieee_inexact 0
		.amdhsa_exception_int_div_zero 0
	.end_amdhsa_kernel
	.section	.text._ZN2at6native12_GLOBAL__N_136fractional_max_pool2d_out_cuda_frameIdEEvN5torch10headeronly6detail27GenericPackedTensorAccessorINS5_14TensorAccessorIN3c108ArrayRefIlEET_Lm3ENS4_16DefaultPtrTraitsElEENS_6detail16IndexBoundsCheckILm4ElEESB_Lm4ESC_lEENS6_INS7_ISA_lLm3ESC_lEESG_lLm4ESC_lEENS6_INS7_ISA_KSB_Lm3ESC_lEESG_SK_Lm4ESC_lEENS6_INS7_ISA_SK_Lm2ESC_lEENSF_ILm3ElEESK_Lm3ESC_lEEii,"axG",@progbits,_ZN2at6native12_GLOBAL__N_136fractional_max_pool2d_out_cuda_frameIdEEvN5torch10headeronly6detail27GenericPackedTensorAccessorINS5_14TensorAccessorIN3c108ArrayRefIlEET_Lm3ENS4_16DefaultPtrTraitsElEENS_6detail16IndexBoundsCheckILm4ElEESB_Lm4ESC_lEENS6_INS7_ISA_lLm3ESC_lEESG_lLm4ESC_lEENS6_INS7_ISA_KSB_Lm3ESC_lEESG_SK_Lm4ESC_lEENS6_INS7_ISA_SK_Lm2ESC_lEENSF_ILm3ElEESK_Lm3ESC_lEEii,comdat
.Lfunc_end0:
	.size	_ZN2at6native12_GLOBAL__N_136fractional_max_pool2d_out_cuda_frameIdEEvN5torch10headeronly6detail27GenericPackedTensorAccessorINS5_14TensorAccessorIN3c108ArrayRefIlEET_Lm3ENS4_16DefaultPtrTraitsElEENS_6detail16IndexBoundsCheckILm4ElEESB_Lm4ESC_lEENS6_INS7_ISA_lLm3ESC_lEESG_lLm4ESC_lEENS6_INS7_ISA_KSB_Lm3ESC_lEESG_SK_Lm4ESC_lEENS6_INS7_ISA_SK_Lm2ESC_lEENSF_ILm3ElEESK_Lm3ESC_lEEii, .Lfunc_end0-_ZN2at6native12_GLOBAL__N_136fractional_max_pool2d_out_cuda_frameIdEEvN5torch10headeronly6detail27GenericPackedTensorAccessorINS5_14TensorAccessorIN3c108ArrayRefIlEET_Lm3ENS4_16DefaultPtrTraitsElEENS_6detail16IndexBoundsCheckILm4ElEESB_Lm4ESC_lEENS6_INS7_ISA_lLm3ESC_lEESG_lLm4ESC_lEENS6_INS7_ISA_KSB_Lm3ESC_lEESG_SK_Lm4ESC_lEENS6_INS7_ISA_SK_Lm2ESC_lEENSF_ILm3ElEESK_Lm3ESC_lEEii
                                        ; -- End function
	.set _ZN2at6native12_GLOBAL__N_136fractional_max_pool2d_out_cuda_frameIdEEvN5torch10headeronly6detail27GenericPackedTensorAccessorINS5_14TensorAccessorIN3c108ArrayRefIlEET_Lm3ENS4_16DefaultPtrTraitsElEENS_6detail16IndexBoundsCheckILm4ElEESB_Lm4ESC_lEENS6_INS7_ISA_lLm3ESC_lEESG_lLm4ESC_lEENS6_INS7_ISA_KSB_Lm3ESC_lEESG_SK_Lm4ESC_lEENS6_INS7_ISA_SK_Lm2ESC_lEENSF_ILm3ElEESK_Lm3ESC_lEEii.num_vgpr, 23
	.set _ZN2at6native12_GLOBAL__N_136fractional_max_pool2d_out_cuda_frameIdEEvN5torch10headeronly6detail27GenericPackedTensorAccessorINS5_14TensorAccessorIN3c108ArrayRefIlEET_Lm3ENS4_16DefaultPtrTraitsElEENS_6detail16IndexBoundsCheckILm4ElEESB_Lm4ESC_lEENS6_INS7_ISA_lLm3ESC_lEESG_lLm4ESC_lEENS6_INS7_ISA_KSB_Lm3ESC_lEESG_SK_Lm4ESC_lEENS6_INS7_ISA_SK_Lm2ESC_lEENSF_ILm3ElEESK_Lm3ESC_lEEii.num_agpr, 0
	.set _ZN2at6native12_GLOBAL__N_136fractional_max_pool2d_out_cuda_frameIdEEvN5torch10headeronly6detail27GenericPackedTensorAccessorINS5_14TensorAccessorIN3c108ArrayRefIlEET_Lm3ENS4_16DefaultPtrTraitsElEENS_6detail16IndexBoundsCheckILm4ElEESB_Lm4ESC_lEENS6_INS7_ISA_lLm3ESC_lEESG_lLm4ESC_lEENS6_INS7_ISA_KSB_Lm3ESC_lEESG_SK_Lm4ESC_lEENS6_INS7_ISA_SK_Lm2ESC_lEENSF_ILm3ElEESK_Lm3ESC_lEEii.numbered_sgpr, 28
	.set _ZN2at6native12_GLOBAL__N_136fractional_max_pool2d_out_cuda_frameIdEEvN5torch10headeronly6detail27GenericPackedTensorAccessorINS5_14TensorAccessorIN3c108ArrayRefIlEET_Lm3ENS4_16DefaultPtrTraitsElEENS_6detail16IndexBoundsCheckILm4ElEESB_Lm4ESC_lEENS6_INS7_ISA_lLm3ESC_lEESG_lLm4ESC_lEENS6_INS7_ISA_KSB_Lm3ESC_lEESG_SK_Lm4ESC_lEENS6_INS7_ISA_SK_Lm2ESC_lEENSF_ILm3ElEESK_Lm3ESC_lEEii.num_named_barrier, 0
	.set _ZN2at6native12_GLOBAL__N_136fractional_max_pool2d_out_cuda_frameIdEEvN5torch10headeronly6detail27GenericPackedTensorAccessorINS5_14TensorAccessorIN3c108ArrayRefIlEET_Lm3ENS4_16DefaultPtrTraitsElEENS_6detail16IndexBoundsCheckILm4ElEESB_Lm4ESC_lEENS6_INS7_ISA_lLm3ESC_lEESG_lLm4ESC_lEENS6_INS7_ISA_KSB_Lm3ESC_lEESG_SK_Lm4ESC_lEENS6_INS7_ISA_SK_Lm2ESC_lEENSF_ILm3ElEESK_Lm3ESC_lEEii.private_seg_size, 0
	.set _ZN2at6native12_GLOBAL__N_136fractional_max_pool2d_out_cuda_frameIdEEvN5torch10headeronly6detail27GenericPackedTensorAccessorINS5_14TensorAccessorIN3c108ArrayRefIlEET_Lm3ENS4_16DefaultPtrTraitsElEENS_6detail16IndexBoundsCheckILm4ElEESB_Lm4ESC_lEENS6_INS7_ISA_lLm3ESC_lEESG_lLm4ESC_lEENS6_INS7_ISA_KSB_Lm3ESC_lEESG_SK_Lm4ESC_lEENS6_INS7_ISA_SK_Lm2ESC_lEENSF_ILm3ElEESK_Lm3ESC_lEEii.uses_vcc, 1
	.set _ZN2at6native12_GLOBAL__N_136fractional_max_pool2d_out_cuda_frameIdEEvN5torch10headeronly6detail27GenericPackedTensorAccessorINS5_14TensorAccessorIN3c108ArrayRefIlEET_Lm3ENS4_16DefaultPtrTraitsElEENS_6detail16IndexBoundsCheckILm4ElEESB_Lm4ESC_lEENS6_INS7_ISA_lLm3ESC_lEESG_lLm4ESC_lEENS6_INS7_ISA_KSB_Lm3ESC_lEESG_SK_Lm4ESC_lEENS6_INS7_ISA_SK_Lm2ESC_lEENSF_ILm3ElEESK_Lm3ESC_lEEii.uses_flat_scratch, 0
	.set _ZN2at6native12_GLOBAL__N_136fractional_max_pool2d_out_cuda_frameIdEEvN5torch10headeronly6detail27GenericPackedTensorAccessorINS5_14TensorAccessorIN3c108ArrayRefIlEET_Lm3ENS4_16DefaultPtrTraitsElEENS_6detail16IndexBoundsCheckILm4ElEESB_Lm4ESC_lEENS6_INS7_ISA_lLm3ESC_lEESG_lLm4ESC_lEENS6_INS7_ISA_KSB_Lm3ESC_lEESG_SK_Lm4ESC_lEENS6_INS7_ISA_SK_Lm2ESC_lEENSF_ILm3ElEESK_Lm3ESC_lEEii.has_dyn_sized_stack, 0
	.set _ZN2at6native12_GLOBAL__N_136fractional_max_pool2d_out_cuda_frameIdEEvN5torch10headeronly6detail27GenericPackedTensorAccessorINS5_14TensorAccessorIN3c108ArrayRefIlEET_Lm3ENS4_16DefaultPtrTraitsElEENS_6detail16IndexBoundsCheckILm4ElEESB_Lm4ESC_lEENS6_INS7_ISA_lLm3ESC_lEESG_lLm4ESC_lEENS6_INS7_ISA_KSB_Lm3ESC_lEESG_SK_Lm4ESC_lEENS6_INS7_ISA_SK_Lm2ESC_lEENSF_ILm3ElEESK_Lm3ESC_lEEii.has_recursion, 0
	.set _ZN2at6native12_GLOBAL__N_136fractional_max_pool2d_out_cuda_frameIdEEvN5torch10headeronly6detail27GenericPackedTensorAccessorINS5_14TensorAccessorIN3c108ArrayRefIlEET_Lm3ENS4_16DefaultPtrTraitsElEENS_6detail16IndexBoundsCheckILm4ElEESB_Lm4ESC_lEENS6_INS7_ISA_lLm3ESC_lEESG_lLm4ESC_lEENS6_INS7_ISA_KSB_Lm3ESC_lEESG_SK_Lm4ESC_lEENS6_INS7_ISA_SK_Lm2ESC_lEENSF_ILm3ElEESK_Lm3ESC_lEEii.has_indirect_call, 0
	.section	.AMDGPU.csdata,"",@progbits
; Kernel info:
; codeLenInByte = 2432
; TotalNumSgprs: 32
; NumVgprs: 23
; ScratchSize: 0
; MemoryBound: 0
; FloatMode: 240
; IeeeMode: 1
; LDSByteSize: 0 bytes/workgroup (compile time only)
; SGPRBlocks: 3
; VGPRBlocks: 5
; NumSGPRsForWavesPerEU: 32
; NumVGPRsForWavesPerEU: 23
; Occupancy: 10
; WaveLimiterHint : 1
; COMPUTE_PGM_RSRC2:SCRATCH_EN: 0
; COMPUTE_PGM_RSRC2:USER_SGPR: 6
; COMPUTE_PGM_RSRC2:TRAP_HANDLER: 0
; COMPUTE_PGM_RSRC2:TGID_X_EN: 1
; COMPUTE_PGM_RSRC2:TGID_Y_EN: 1
; COMPUTE_PGM_RSRC2:TGID_Z_EN: 1
; COMPUTE_PGM_RSRC2:TIDIG_COMP_CNT: 0
	.section	.text._ZN2at6native12_GLOBAL__N_136fractional_max_pool2d_out_cuda_frameIfEEvN5torch10headeronly6detail27GenericPackedTensorAccessorINS5_14TensorAccessorIN3c108ArrayRefIlEET_Lm3ENS4_16DefaultPtrTraitsElEENS_6detail16IndexBoundsCheckILm4ElEESB_Lm4ESC_lEENS6_INS7_ISA_lLm3ESC_lEESG_lLm4ESC_lEENS6_INS7_ISA_KSB_Lm3ESC_lEESG_SK_Lm4ESC_lEENS6_INS7_ISA_SK_Lm2ESC_lEENSF_ILm3ElEESK_Lm3ESC_lEEii,"axG",@progbits,_ZN2at6native12_GLOBAL__N_136fractional_max_pool2d_out_cuda_frameIfEEvN5torch10headeronly6detail27GenericPackedTensorAccessorINS5_14TensorAccessorIN3c108ArrayRefIlEET_Lm3ENS4_16DefaultPtrTraitsElEENS_6detail16IndexBoundsCheckILm4ElEESB_Lm4ESC_lEENS6_INS7_ISA_lLm3ESC_lEESG_lLm4ESC_lEENS6_INS7_ISA_KSB_Lm3ESC_lEESG_SK_Lm4ESC_lEENS6_INS7_ISA_SK_Lm2ESC_lEENSF_ILm3ElEESK_Lm3ESC_lEEii,comdat
	.globl	_ZN2at6native12_GLOBAL__N_136fractional_max_pool2d_out_cuda_frameIfEEvN5torch10headeronly6detail27GenericPackedTensorAccessorINS5_14TensorAccessorIN3c108ArrayRefIlEET_Lm3ENS4_16DefaultPtrTraitsElEENS_6detail16IndexBoundsCheckILm4ElEESB_Lm4ESC_lEENS6_INS7_ISA_lLm3ESC_lEESG_lLm4ESC_lEENS6_INS7_ISA_KSB_Lm3ESC_lEESG_SK_Lm4ESC_lEENS6_INS7_ISA_SK_Lm2ESC_lEENSF_ILm3ElEESK_Lm3ESC_lEEii ; -- Begin function _ZN2at6native12_GLOBAL__N_136fractional_max_pool2d_out_cuda_frameIfEEvN5torch10headeronly6detail27GenericPackedTensorAccessorINS5_14TensorAccessorIN3c108ArrayRefIlEET_Lm3ENS4_16DefaultPtrTraitsElEENS_6detail16IndexBoundsCheckILm4ElEESB_Lm4ESC_lEENS6_INS7_ISA_lLm3ESC_lEESG_lLm4ESC_lEENS6_INS7_ISA_KSB_Lm3ESC_lEESG_SK_Lm4ESC_lEENS6_INS7_ISA_SK_Lm2ESC_lEENSF_ILm3ElEESK_Lm3ESC_lEEii
	.p2align	8
	.type	_ZN2at6native12_GLOBAL__N_136fractional_max_pool2d_out_cuda_frameIfEEvN5torch10headeronly6detail27GenericPackedTensorAccessorINS5_14TensorAccessorIN3c108ArrayRefIlEET_Lm3ENS4_16DefaultPtrTraitsElEENS_6detail16IndexBoundsCheckILm4ElEESB_Lm4ESC_lEENS6_INS7_ISA_lLm3ESC_lEESG_lLm4ESC_lEENS6_INS7_ISA_KSB_Lm3ESC_lEESG_SK_Lm4ESC_lEENS6_INS7_ISA_SK_Lm2ESC_lEENSF_ILm3ElEESK_Lm3ESC_lEEii,@function
_ZN2at6native12_GLOBAL__N_136fractional_max_pool2d_out_cuda_frameIfEEvN5torch10headeronly6detail27GenericPackedTensorAccessorINS5_14TensorAccessorIN3c108ArrayRefIlEET_Lm3ENS4_16DefaultPtrTraitsElEENS_6detail16IndexBoundsCheckILm4ElEESB_Lm4ESC_lEENS6_INS7_ISA_lLm3ESC_lEESG_lLm4ESC_lEENS6_INS7_ISA_KSB_Lm3ESC_lEESG_SK_Lm4ESC_lEENS6_INS7_ISA_SK_Lm2ESC_lEENSF_ILm3ElEESK_Lm3ESC_lEEii: ; @_ZN2at6native12_GLOBAL__N_136fractional_max_pool2d_out_cuda_frameIfEEvN5torch10headeronly6detail27GenericPackedTensorAccessorINS5_14TensorAccessorIN3c108ArrayRefIlEET_Lm3ENS4_16DefaultPtrTraitsElEENS_6detail16IndexBoundsCheckILm4ElEESB_Lm4ESC_lEENS6_INS7_ISA_lLm3ESC_lEESG_lLm4ESC_lEENS6_INS7_ISA_KSB_Lm3ESC_lEESG_SK_Lm4ESC_lEENS6_INS7_ISA_SK_Lm2ESC_lEENSF_ILm3ElEESK_Lm3ESC_lEEii
; %bb.0:
	s_load_dword s0, s[4:5], 0x124
	s_load_dwordx4 s[12:15], s[4:5], 0x18
	s_waitcnt lgkmcnt(0)
	s_and_b32 s0, s0, 0xffff
	s_mul_i32 s6, s6, s0
	s_mul_i32 s0, s14, s13
	s_mul_hi_u32 s1, s14, s12
	v_add_u32_e32 v2, s6, v0
	s_add_i32 s0, s1, s0
	s_mul_i32 s1, s15, s12
	v_ashrrev_i32_e32 v3, 31, v2
	s_add_i32 s1, s0, s1
	s_mul_i32 s0, s14, s12
	v_cmp_gt_i64_e32 vcc, s[0:1], v[2:3]
	s_and_saveexec_b64 s[0:1], vcc
	s_cbranch_execz .LBB1_25
; %bb.1:
	v_or_b32_e32 v1, s15, v3
	v_mov_b32_e32 v0, 0
	v_cmp_ne_u64_e32 vcc, 0, v[0:1]
                                        ; implicit-def: $vgpr0_vgpr1
	s_and_saveexec_b64 s[0:1], vcc
	s_xor_b64 s[2:3], exec, s[0:1]
	s_cbranch_execz .LBB1_3
; %bb.2:
	s_ashr_i32 s10, s15, 31
	s_add_u32 s0, s14, s10
	s_mov_b32 s11, s10
	s_addc_u32 s1, s15, s10
	s_xor_b64 s[16:17], s[0:1], s[10:11]
	v_cvt_f32_u32_e32 v0, s16
	v_cvt_f32_u32_e32 v1, s17
	s_sub_u32 s6, 0, s16
	s_subb_u32 s9, 0, s17
	v_ashrrev_i32_e32 v6, 31, v3
	v_madmk_f32 v0, v1, 0x4f800000, v0
	v_rcp_f32_e32 v0, v0
	v_mul_f32_e32 v0, 0x5f7ffffc, v0
	v_mul_f32_e32 v1, 0x2f800000, v0
	v_trunc_f32_e32 v1, v1
	v_madmk_f32 v0, v1, 0xcf800000, v0
	v_cvt_u32_f32_e32 v1, v1
	v_cvt_u32_f32_e32 v0, v0
	v_readfirstlane_b32 s11, v1
	v_readfirstlane_b32 s0, v0
	s_mul_i32 s1, s6, s11
	s_mul_hi_u32 s18, s6, s0
	s_mul_i32 s13, s9, s0
	s_add_i32 s1, s18, s1
	s_add_i32 s1, s1, s13
	s_mul_i32 s19, s6, s0
	s_mul_i32 s18, s0, s1
	s_mul_hi_u32 s20, s0, s19
	s_mul_hi_u32 s13, s0, s1
	s_add_u32 s18, s20, s18
	s_addc_u32 s13, 0, s13
	s_mul_hi_u32 s21, s11, s19
	s_mul_i32 s19, s11, s19
	s_add_u32 s18, s18, s19
	s_mul_hi_u32 s20, s11, s1
	s_addc_u32 s13, s13, s21
	s_addc_u32 s18, s20, 0
	s_mul_i32 s1, s11, s1
	s_add_u32 s1, s13, s1
	s_addc_u32 s13, 0, s18
	s_add_u32 s18, s0, s1
	s_cselect_b64 s[0:1], -1, 0
	s_cmp_lg_u64 s[0:1], 0
	s_addc_u32 s11, s11, s13
	s_mul_i32 s0, s6, s11
	s_mul_hi_u32 s1, s6, s18
	s_add_i32 s0, s1, s0
	s_mul_i32 s9, s9, s18
	s_add_i32 s0, s0, s9
	s_mul_i32 s6, s6, s18
	s_mul_hi_u32 s9, s11, s6
	s_mul_i32 s13, s11, s6
	s_mul_i32 s20, s18, s0
	s_mul_hi_u32 s6, s18, s6
	s_mul_hi_u32 s19, s18, s0
	s_add_u32 s6, s6, s20
	s_addc_u32 s19, 0, s19
	s_add_u32 s6, s6, s13
	s_mul_hi_u32 s1, s11, s0
	s_addc_u32 s6, s19, s9
	s_addc_u32 s1, s1, 0
	s_mul_i32 s0, s11, s0
	s_add_u32 s0, s6, s0
	s_addc_u32 s6, 0, s1
	s_add_u32 s9, s18, s0
	s_cselect_b64 s[0:1], -1, 0
	s_cmp_lg_u64 s[0:1], 0
	v_add_co_u32_e32 v0, vcc, v2, v6
	s_addc_u32 s6, s11, s6
	v_xor_b32_e32 v7, v0, v6
	v_mad_u64_u32 v[0:1], s[0:1], v7, s6, 0
	v_mul_hi_u32 v5, v7, s9
	v_addc_co_u32_e32 v4, vcc, v3, v6, vcc
	v_xor_b32_e32 v8, v4, v6
	v_add_co_u32_e32 v9, vcc, v5, v0
	v_addc_co_u32_e32 v10, vcc, 0, v1, vcc
	v_mad_u64_u32 v[0:1], s[0:1], v8, s9, 0
	v_mad_u64_u32 v[4:5], s[0:1], v8, s6, 0
	v_add_co_u32_e32 v0, vcc, v9, v0
	v_addc_co_u32_e32 v0, vcc, v10, v1, vcc
	v_addc_co_u32_e32 v1, vcc, 0, v5, vcc
	v_add_co_u32_e32 v4, vcc, v0, v4
	v_addc_co_u32_e32 v5, vcc, 0, v1, vcc
	v_mul_lo_u32 v9, s17, v4
	v_mul_lo_u32 v10, s16, v5
	v_mad_u64_u32 v[0:1], s[0:1], s16, v4, 0
	v_add3_u32 v1, v1, v10, v9
	v_sub_u32_e32 v9, v8, v1
	v_mov_b32_e32 v10, s17
	v_sub_co_u32_e32 v0, vcc, v7, v0
	v_subb_co_u32_e64 v7, s[0:1], v9, v10, vcc
	v_subrev_co_u32_e64 v9, s[0:1], s16, v0
	v_subbrev_co_u32_e64 v7, s[0:1], 0, v7, s[0:1]
	v_cmp_le_u32_e64 s[0:1], s17, v7
	v_cndmask_b32_e64 v10, 0, -1, s[0:1]
	v_cmp_le_u32_e64 s[0:1], s16, v9
	v_cndmask_b32_e64 v9, 0, -1, s[0:1]
	v_cmp_eq_u32_e64 s[0:1], s17, v7
	v_cndmask_b32_e64 v7, v10, v9, s[0:1]
	v_add_co_u32_e64 v9, s[0:1], 2, v4
	v_subb_co_u32_e32 v1, vcc, v8, v1, vcc
	v_addc_co_u32_e64 v10, s[0:1], 0, v5, s[0:1]
	v_cmp_le_u32_e32 vcc, s17, v1
	v_add_co_u32_e64 v11, s[0:1], 1, v4
	v_cndmask_b32_e64 v8, 0, -1, vcc
	v_cmp_le_u32_e32 vcc, s16, v0
	v_addc_co_u32_e64 v12, s[0:1], 0, v5, s[0:1]
	v_cndmask_b32_e64 v0, 0, -1, vcc
	v_cmp_eq_u32_e32 vcc, s17, v1
	v_cmp_ne_u32_e64 s[0:1], 0, v7
	v_cndmask_b32_e32 v0, v8, v0, vcc
	v_cndmask_b32_e64 v7, v12, v10, s[0:1]
	v_cmp_ne_u32_e32 vcc, 0, v0
	v_cndmask_b32_e64 v1, v11, v9, s[0:1]
	v_cndmask_b32_e32 v0, v5, v7, vcc
	v_cndmask_b32_e32 v1, v4, v1, vcc
	v_xor_b32_e32 v4, s10, v6
	v_xor_b32_e32 v5, v0, v4
	;; [unrolled: 1-line block ×3, first 2 shown]
	v_sub_co_u32_e32 v0, vcc, v0, v4
	v_subb_co_u32_e32 v1, vcc, v5, v4, vcc
.LBB1_3:
	s_andn2_saveexec_b64 s[0:1], s[2:3]
	s_cbranch_execz .LBB1_5
; %bb.4:
	v_cvt_f32_u32_e32 v0, s14
	s_sub_i32 s2, 0, s14
	v_rcp_iflag_f32_e32 v0, v0
	v_mul_f32_e32 v0, 0x4f7ffffe, v0
	v_cvt_u32_f32_e32 v0, v0
	v_mul_lo_u32 v1, s2, v0
	v_mul_hi_u32 v1, v0, v1
	v_add_u32_e32 v0, v0, v1
	v_mul_hi_u32 v0, v2, v0
	v_mul_lo_u32 v1, v0, s14
	v_add_u32_e32 v4, 1, v0
	v_sub_u32_e32 v1, v2, v1
	v_subrev_u32_e32 v5, s14, v1
	v_cmp_le_u32_e32 vcc, s14, v1
	v_cndmask_b32_e32 v1, v1, v5, vcc
	v_cndmask_b32_e32 v0, v0, v4, vcc
	v_add_u32_e32 v4, 1, v0
	v_cmp_le_u32_e32 vcc, s14, v1
	v_cndmask_b32_e32 v0, v0, v4, vcc
	v_mov_b32_e32 v1, 0
.LBB1_5:
	s_or_b64 exec, exec, s[0:1]
	v_mad_u64_u32 v[4:5], s[0:1], v0, s14, 0
	s_load_dwordx2 s[20:21], s[4:5], 0x110
	s_load_dwordx4 s[0:3], s[4:5], 0xf8
	s_ashr_i32 s6, s8, 31
	s_load_dword s24, s[4:5], 0xb0
	s_load_dwordx2 s[10:11], s[4:5], 0xd8
	v_mul_lo_u32 v1, v1, s14
	v_mul_lo_u32 v6, v0, s15
	s_waitcnt lgkmcnt(0)
	s_mul_hi_u32 s9, s0, s8
	s_mul_i32 s13, s0, s6
	s_add_i32 s9, s9, s13
	s_mul_i32 s1, s1, s8
	s_add_i32 s1, s9, s1
	s_mul_i32 s0, s0, s8
	s_lshl_b64 s[0:1], s[0:1], 2
	s_add_u32 s10, s10, s0
	s_addc_u32 s11, s11, s1
	s_ashr_i32 s9, s7, 31
	s_mul_hi_u32 s0, s2, s7
	s_mul_i32 s1, s2, s9
	s_add_i32 s0, s0, s1
	s_mul_i32 s1, s3, s7
	s_add_i32 s1, s0, s1
	s_mul_i32 s0, s2, s7
	s_lshl_b64 s[0:1], s[0:1], 2
	v_add3_u32 v1, v5, v6, v1
	v_sub_co_u32_e32 v6, vcc, v2, v4
	s_add_u32 s0, s10, s0
	v_subb_co_u32_e32 v7, vcc, v3, v1, vcc
	s_addc_u32 s1, s11, s1
	s_sub_i32 s10, s24, s21
	s_add_i32 s11, s14, -1
	v_cmp_ne_u32_e32 vcc, s11, v6
	v_mov_b32_e32 v8, s10
	s_and_saveexec_b64 s[2:3], vcc
	s_cbranch_execz .LBB1_7
; %bb.6:
	v_cvt_f32_i32_e32 v1, s10
	v_cvt_f32_i32_e32 v2, s11
	v_div_scale_f32 v3, s[10:11], v2, v2, v1
	v_div_scale_f32 v4, vcc, v1, v2, v1
	s_load_dword s10, s[0:1], 0x0
	v_rcp_f32_e32 v5, v3
	v_fma_f32 v8, -v3, v5, 1.0
	v_fmac_f32_e32 v5, v8, v5
	v_mul_f32_e32 v8, v4, v5
	v_fma_f32 v9, -v3, v8, v4
	v_fmac_f32_e32 v8, v9, v5
	v_fma_f32 v3, -v3, v8, v4
	v_div_fmas_f32 v3, v3, v5, v8
	v_cvt_f32_i32_e32 v4, v6
	s_waitcnt lgkmcnt(0)
	v_add_f32_e32 v4, s10, v4
	v_div_fixup_f32 v1, v3, v2, v1
	v_mul_f32_e32 v2, v1, v4
	v_mul_f32_e32 v1, s10, v1
	v_cvt_i32_f32_e32 v2, v2
	v_cvt_i32_f32_e32 v1, v1
	v_sub_u32_e32 v8, v2, v1
.LBB1_7:
	s_or_b64 exec, exec, s[2:3]
	s_load_dword s2, s[4:5], 0xa8
	s_add_i32 s10, s12, -1
	v_cmp_ne_u32_e32 vcc, s10, v0
	s_waitcnt lgkmcnt(0)
	s_sub_i32 s11, s2, s20
	v_mov_b32_e32 v9, s11
	s_and_saveexec_b64 s[2:3], vcc
	s_cbranch_execz .LBB1_9
; %bb.8:
	v_cvt_f32_i32_e32 v1, s11
	v_cvt_f32_i32_e32 v2, s10
	v_div_scale_f32 v3, s[10:11], v2, v2, v1
	v_div_scale_f32 v4, vcc, v1, v2, v1
	s_load_dwordx2 s[10:11], s[4:5], 0x108
	s_waitcnt lgkmcnt(0)
	s_lshl_b64 s[10:11], s[10:11], 2
	s_add_u32 s0, s0, s10
	s_addc_u32 s1, s1, s11
	s_load_dword s0, s[0:1], 0x0
	v_rcp_f32_e32 v5, v3
	v_fma_f32 v9, -v3, v5, 1.0
	v_fmac_f32_e32 v5, v9, v5
	v_mul_f32_e32 v9, v4, v5
	v_fma_f32 v10, -v3, v9, v4
	v_fmac_f32_e32 v9, v10, v5
	v_fma_f32 v3, -v3, v9, v4
	v_div_fmas_f32 v3, v3, v5, v9
	v_cvt_f32_i32_e32 v4, v0
	s_waitcnt lgkmcnt(0)
	v_add_f32_e32 v4, s0, v4
	v_div_fixup_f32 v1, v3, v2, v1
	v_mul_f32_e32 v2, v1, v4
	v_mul_f32_e32 v1, s0, v1
	v_cvt_i32_f32_e32 v2, v2
	v_cvt_i32_f32_e32 v1, v1
	v_sub_u32_e32 v9, v2, v1
.LBB1_9:
	s_or_b64 exec, exec, s[2:3]
	v_mul_lo_u32 v10, v9, s24
	s_cmp_lt_i32 s20, 1
	v_add_u32_e32 v1, v10, v8
	s_cbranch_scc1 .LBB1_23
; %bb.10:
	s_load_dwordx8 s[12:19], s[4:5], 0xb8
	s_add_i32 s0, s21, -8
	v_ashrrev_i32_e32 v2, 31, v8
	s_cmp_gt_u32 s0, -7
	v_add_u32_e32 v11, s20, v9
	s_waitcnt lgkmcnt(0)
	v_mul_lo_u32 v4, s19, v8
	v_mul_lo_u32 v5, s18, v2
	v_mad_u64_u32 v[2:3], s[2:3], s18, v8, 0
	s_cselect_b64 s[0:1], -1, 0
	s_cmp_gt_i32 s21, 0
	s_mul_i32 s20, s14, s9
	s_mul_hi_u32 s22, s14, s7
	s_cselect_b64 s[2:3], -1, 0
	s_add_i32 s20, s22, s20
	s_mul_i32 s15, s15, s7
	s_add_i32 s15, s20, s15
	s_mul_i32 s14, s14, s7
	v_add3_u32 v3, v3, v5, v4
	s_lshl_b64 s[22:23], s[14:15], 2
	s_mul_i32 s14, s12, s6
	s_mul_hi_u32 s15, s12, s8
	v_ashrrev_i32_e32 v4, 31, v9
	s_add_i32 s20, s15, s14
	s_mul_i32 s13, s13, s8
	v_mul_lo_u32 v13, s17, v9
	v_mul_lo_u32 v14, s16, v4
	v_mad_u64_u32 v[4:5], s[14:15], s16, v9, 0
	s_add_i32 s13, s20, s13
	s_mul_i32 s12, s12, s8
	s_lshl_b64 s[12:13], s[12:13], 2
	s_lshl_b64 s[14:15], s[16:17], 2
	;; [unrolled: 1-line block ×3, first 2 shown]
	v_lshlrev_b64 v[2:3], 2, v[2:3]
	s_add_u32 s12, s12, s22
	s_load_dwordx2 s[10:11], s[4:5], 0x90
	v_add3_u32 v5, v5, v14, v13
	s_addc_u32 s13, s13, s23
	v_lshlrev_b64 v[4:5], 2, v[4:5]
	v_mov_b32_e32 v13, s13
	v_add_co_u32_e32 v2, vcc, s12, v2
	v_addc_co_u32_e32 v3, vcc, v13, v3, vcc
	v_add_co_u32_e32 v2, vcc, v2, v4
	v_addc_co_u32_e32 v3, vcc, v3, v5, vcc
	s_waitcnt lgkmcnt(0)
	v_mov_b32_e32 v4, s11
	v_add_co_u32_e32 v2, vcc, s10, v2
	v_addc_co_u32_e32 v3, vcc, v4, v3, vcc
	v_cndmask_b32_e64 v4, 0, 1, s[0:1]
	v_cmp_ne_u32_e64 s[0:1], 1, v4
	v_cndmask_b32_e64 v4, 0, 1, s[2:3]
	v_add_u32_e32 v12, s21, v8
	v_mov_b32_e32 v14, 0xff800000
	s_mov_b64 s[18:19], 0
	v_cmp_ne_u32_e64 s[2:3], 1, v4
	v_mov_b32_e32 v15, v1
	s_branch .LBB1_13
.LBB1_11:                               ;   in Loop: Header=BB1_13 Depth=1
	v_mov_b32_e32 v16, v15
	v_mov_b32_e32 v13, v14
.LBB1_12:                               ;   in Loop: Header=BB1_13 Depth=1
	v_mov_b32_e32 v4, s15
	v_add_co_u32_e32 v2, vcc, s14, v2
	v_add_u32_e32 v9, 1, v9
	v_addc_co_u32_e32 v3, vcc, v3, v4, vcc
	v_cmp_ge_i32_e32 vcc, v9, v11
	v_add_u32_e32 v1, s24, v1
	v_add_u32_e32 v10, s24, v10
	s_or_b64 s[18:19], vcc, s[18:19]
	v_mov_b32_e32 v14, v13
	v_mov_b32_e32 v15, v16
	s_andn2_b64 exec, exec, s[18:19]
	s_cbranch_execz .LBB1_22
.LBB1_13:                               ; =>This Loop Header: Depth=1
                                        ;     Child Loop BB1_15 Depth 2
                                        ;     Child Loop BB1_20 Depth 2
	s_and_b64 vcc, exec, s[0:1]
	s_mov_b64 s[10:11], -1
                                        ; implicit-def: $vgpr13
                                        ; implicit-def: $vgpr16
	s_cbranch_vccnz .LBB1_17
; %bb.14:                               ;   in Loop: Header=BB1_13 Depth=1
	v_mov_b32_e32 v5, v3
	s_and_b64 vcc, exec, s[2:3]
	v_mov_b32_e32 v13, v14
	v_mov_b32_e32 v16, v15
	;; [unrolled: 1-line block ×4, first 2 shown]
	s_mov_b32 s12, s21
	s_cbranch_vccnz .LBB1_16
.LBB1_15:                               ;   Parent Loop BB1_13 Depth=1
                                        ; =>  This Inner Loop Header: Depth=2
	global_load_dword v18, v[4:5], off
	v_mov_b32_e32 v19, s17
	v_add_co_u32_e32 v4, vcc, s16, v4
	v_addc_co_u32_e32 v5, vcc, v5, v19, vcc
	s_add_i32 s12, s12, -1
	s_waitcnt vmcnt(0)
	v_cmp_gt_f32_e32 vcc, v18, v13
	v_cmp_u_f32_e64 s[10:11], v18, v18
	s_or_b64 vcc, vcc, s[10:11]
	v_cndmask_b32_e32 v16, v16, v17, vcc
	v_add_u32_e32 v17, 1, v17
	s_cmp_lg_u32 s12, 0
	v_cndmask_b32_e32 v13, v13, v18, vcc
	s_cbranch_scc1 .LBB1_15
.LBB1_16:                               ;   in Loop: Header=BB1_13 Depth=1
	s_mov_b64 s[10:11], 0
.LBB1_17:                               ;   in Loop: Header=BB1_13 Depth=1
	s_andn2_b64 vcc, exec, s[10:11]
	s_cbranch_vccnz .LBB1_12
; %bb.18:                               ;   in Loop: Header=BB1_13 Depth=1
	s_and_b64 vcc, exec, s[2:3]
	s_cbranch_vccnz .LBB1_11
; %bb.19:                               ;   in Loop: Header=BB1_13 Depth=1
	v_mov_b32_e32 v5, v3
	s_mov_b64 s[22:23], 0
	v_mov_b32_e32 v4, v2
	v_mov_b32_e32 v13, v8
.LBB1_20:                               ;   Parent Loop BB1_13 Depth=1
                                        ; =>  This Inner Loop Header: Depth=2
	global_load_dword v16, v[4:5], off
	v_mov_b32_e32 v18, s17
	v_add_co_u32_e32 v4, vcc, s16, v4
	v_add_u32_e32 v17, v10, v13
	v_add_u32_e32 v13, 1, v13
	v_addc_co_u32_e32 v5, vcc, v5, v18, vcc
	v_cmp_ge_i32_e32 vcc, v13, v12
	s_waitcnt vmcnt(0)
	v_cmp_gt_f32_e64 s[10:11], v16, v14
	v_cmp_u_f32_e64 s[12:13], v16, v16
	s_or_b64 s[10:11], s[10:11], s[12:13]
	v_cndmask_b32_e64 v15, v15, v17, s[10:11]
	s_or_b64 s[22:23], vcc, s[22:23]
	v_cndmask_b32_e64 v14, v14, v16, s[10:11]
	s_andn2_b64 exec, exec, s[22:23]
	s_cbranch_execnz .LBB1_20
; %bb.21:                               ;   in Loop: Header=BB1_13 Depth=1
	s_or_b64 exec, exec, s[22:23]
	s_branch .LBB1_11
.LBB1_22:
	s_or_b64 exec, exec, s[18:19]
	v_mov_b32_e32 v1, v16
	s_branch .LBB1_24
.LBB1_23:
	v_mov_b32_e32 v13, 0xff800000
.LBB1_24:
	s_load_dwordx8 s[20:27], s[4:5], 0x70
	s_load_dwordx2 s[0:1], s[4:5], 0x0
	s_load_dwordx8 s[12:19], s[4:5], 0x28
	s_load_dwordx2 s[2:3], s[4:5], 0x48
	v_ashrrev_i32_e32 v5, 31, v0
	v_ashrrev_i32_e32 v2, 31, v1
	s_waitcnt lgkmcnt(0)
	s_mul_i32 s4, s20, s6
	s_mul_hi_u32 s5, s20, s8
	s_add_i32 s4, s5, s4
	s_mul_i32 s5, s21, s8
	s_add_i32 s5, s4, s5
	s_mul_i32 s4, s20, s8
	s_lshl_b64 s[4:5], s[4:5], 3
	s_add_u32 s10, s2, s4
	s_addc_u32 s11, s3, s5
	s_mul_i32 s2, s22, s9
	s_mul_hi_u32 s3, s22, s7
	s_add_i32 s2, s3, s2
	s_mul_i32 s3, s23, s7
	s_add_i32 s3, s2, s3
	s_mul_i32 s2, s22, s7
	v_mul_lo_u32 v8, s25, v0
	v_mul_lo_u32 v9, s24, v5
	v_mad_u64_u32 v[3:4], s[4:5], s24, v0, 0
	s_lshl_b64 s[2:3], s[2:3], 3
	s_add_u32 s4, s10, s2
	s_addc_u32 s2, s11, s3
	v_add3_u32 v4, v4, v9, v8
	v_mov_b32_e32 v10, s2
	v_mul_lo_u32 v11, s27, v6
	v_mul_lo_u32 v12, s26, v7
	v_mad_u64_u32 v[8:9], s[2:3], s26, v6, 0
	v_lshlrev_b64 v[3:4], 3, v[3:4]
	s_mul_i32 s2, s12, s6
	s_mul_hi_u32 s3, s12, s8
	s_add_i32 s2, s3, s2
	s_mul_i32 s3, s13, s8
	v_add_co_u32_e32 v14, vcc, s4, v3
	v_add3_u32 v9, v9, v12, v11
	s_add_i32 s3, s2, s3
	s_mul_i32 s2, s12, s8
	v_addc_co_u32_e32 v10, vcc, v10, v4, vcc
	v_lshlrev_b64 v[3:4], 3, v[8:9]
	s_lshl_b64 s[2:3], s[2:3], 2
	s_add_u32 s4, s0, s2
	v_add_co_u32_e32 v3, vcc, v14, v3
	s_addc_u32 s5, s1, s3
	s_mul_i32 s0, s14, s9
	s_mul_hi_u32 s1, s14, s7
	v_addc_co_u32_e32 v4, vcc, v10, v4, vcc
	s_add_i32 s0, s1, s0
	s_mul_i32 s1, s15, s7
	global_store_dwordx2 v[3:4], v[1:2], off
	s_add_i32 s1, s0, s1
	s_mul_i32 s0, s14, s7
	v_mul_lo_u32 v2, s17, v0
	v_mul_lo_u32 v3, s16, v5
	v_mad_u64_u32 v[0:1], s[2:3], s16, v0, 0
	s_lshl_b64 s[0:1], s[0:1], 2
	s_add_u32 s2, s4, s0
	s_addc_u32 s0, s5, s1
	v_add3_u32 v1, v1, v3, v2
	v_mov_b32_e32 v4, s0
	v_mul_lo_u32 v5, s19, v6
	v_mul_lo_u32 v7, s18, v7
	v_mad_u64_u32 v[2:3], s[0:1], s18, v6, 0
	v_lshlrev_b64 v[0:1], 2, v[0:1]
	v_add_co_u32_e32 v6, vcc, s2, v0
	v_add3_u32 v3, v3, v7, v5
	v_addc_co_u32_e32 v4, vcc, v4, v1, vcc
	v_lshlrev_b64 v[0:1], 2, v[2:3]
	v_add_co_u32_e32 v0, vcc, v6, v0
	v_addc_co_u32_e32 v1, vcc, v4, v1, vcc
	global_store_dword v[0:1], v13, off
.LBB1_25:
	s_endpgm
	.section	.rodata,"a",@progbits
	.p2align	6, 0x0
	.amdhsa_kernel _ZN2at6native12_GLOBAL__N_136fractional_max_pool2d_out_cuda_frameIfEEvN5torch10headeronly6detail27GenericPackedTensorAccessorINS5_14TensorAccessorIN3c108ArrayRefIlEET_Lm3ENS4_16DefaultPtrTraitsElEENS_6detail16IndexBoundsCheckILm4ElEESB_Lm4ESC_lEENS6_INS7_ISA_lLm3ESC_lEESG_lLm4ESC_lEENS6_INS7_ISA_KSB_Lm3ESC_lEESG_SK_Lm4ESC_lEENS6_INS7_ISA_SK_Lm2ESC_lEENSF_ILm3ElEESK_Lm3ESC_lEEii
		.amdhsa_group_segment_fixed_size 0
		.amdhsa_private_segment_fixed_size 0
		.amdhsa_kernarg_size 536
		.amdhsa_user_sgpr_count 6
		.amdhsa_user_sgpr_private_segment_buffer 1
		.amdhsa_user_sgpr_dispatch_ptr 0
		.amdhsa_user_sgpr_queue_ptr 0
		.amdhsa_user_sgpr_kernarg_segment_ptr 1
		.amdhsa_user_sgpr_dispatch_id 0
		.amdhsa_user_sgpr_flat_scratch_init 0
		.amdhsa_user_sgpr_private_segment_size 0
		.amdhsa_uses_dynamic_stack 0
		.amdhsa_system_sgpr_private_segment_wavefront_offset 0
		.amdhsa_system_sgpr_workgroup_id_x 1
		.amdhsa_system_sgpr_workgroup_id_y 1
		.amdhsa_system_sgpr_workgroup_id_z 1
		.amdhsa_system_sgpr_workgroup_info 0
		.amdhsa_system_vgpr_workitem_id 0
		.amdhsa_next_free_vgpr 20
		.amdhsa_next_free_sgpr 28
		.amdhsa_reserve_vcc 1
		.amdhsa_reserve_flat_scratch 0
		.amdhsa_float_round_mode_32 0
		.amdhsa_float_round_mode_16_64 0
		.amdhsa_float_denorm_mode_32 3
		.amdhsa_float_denorm_mode_16_64 3
		.amdhsa_dx10_clamp 1
		.amdhsa_ieee_mode 1
		.amdhsa_fp16_overflow 0
		.amdhsa_exception_fp_ieee_invalid_op 0
		.amdhsa_exception_fp_denorm_src 0
		.amdhsa_exception_fp_ieee_div_zero 0
		.amdhsa_exception_fp_ieee_overflow 0
		.amdhsa_exception_fp_ieee_underflow 0
		.amdhsa_exception_fp_ieee_inexact 0
		.amdhsa_exception_int_div_zero 0
	.end_amdhsa_kernel
	.section	.text._ZN2at6native12_GLOBAL__N_136fractional_max_pool2d_out_cuda_frameIfEEvN5torch10headeronly6detail27GenericPackedTensorAccessorINS5_14TensorAccessorIN3c108ArrayRefIlEET_Lm3ENS4_16DefaultPtrTraitsElEENS_6detail16IndexBoundsCheckILm4ElEESB_Lm4ESC_lEENS6_INS7_ISA_lLm3ESC_lEESG_lLm4ESC_lEENS6_INS7_ISA_KSB_Lm3ESC_lEESG_SK_Lm4ESC_lEENS6_INS7_ISA_SK_Lm2ESC_lEENSF_ILm3ElEESK_Lm3ESC_lEEii,"axG",@progbits,_ZN2at6native12_GLOBAL__N_136fractional_max_pool2d_out_cuda_frameIfEEvN5torch10headeronly6detail27GenericPackedTensorAccessorINS5_14TensorAccessorIN3c108ArrayRefIlEET_Lm3ENS4_16DefaultPtrTraitsElEENS_6detail16IndexBoundsCheckILm4ElEESB_Lm4ESC_lEENS6_INS7_ISA_lLm3ESC_lEESG_lLm4ESC_lEENS6_INS7_ISA_KSB_Lm3ESC_lEESG_SK_Lm4ESC_lEENS6_INS7_ISA_SK_Lm2ESC_lEENSF_ILm3ElEESK_Lm3ESC_lEEii,comdat
.Lfunc_end1:
	.size	_ZN2at6native12_GLOBAL__N_136fractional_max_pool2d_out_cuda_frameIfEEvN5torch10headeronly6detail27GenericPackedTensorAccessorINS5_14TensorAccessorIN3c108ArrayRefIlEET_Lm3ENS4_16DefaultPtrTraitsElEENS_6detail16IndexBoundsCheckILm4ElEESB_Lm4ESC_lEENS6_INS7_ISA_lLm3ESC_lEESG_lLm4ESC_lEENS6_INS7_ISA_KSB_Lm3ESC_lEESG_SK_Lm4ESC_lEENS6_INS7_ISA_SK_Lm2ESC_lEENSF_ILm3ElEESK_Lm3ESC_lEEii, .Lfunc_end1-_ZN2at6native12_GLOBAL__N_136fractional_max_pool2d_out_cuda_frameIfEEvN5torch10headeronly6detail27GenericPackedTensorAccessorINS5_14TensorAccessorIN3c108ArrayRefIlEET_Lm3ENS4_16DefaultPtrTraitsElEENS_6detail16IndexBoundsCheckILm4ElEESB_Lm4ESC_lEENS6_INS7_ISA_lLm3ESC_lEESG_lLm4ESC_lEENS6_INS7_ISA_KSB_Lm3ESC_lEESG_SK_Lm4ESC_lEENS6_INS7_ISA_SK_Lm2ESC_lEENSF_ILm3ElEESK_Lm3ESC_lEEii
                                        ; -- End function
	.set _ZN2at6native12_GLOBAL__N_136fractional_max_pool2d_out_cuda_frameIfEEvN5torch10headeronly6detail27GenericPackedTensorAccessorINS5_14TensorAccessorIN3c108ArrayRefIlEET_Lm3ENS4_16DefaultPtrTraitsElEENS_6detail16IndexBoundsCheckILm4ElEESB_Lm4ESC_lEENS6_INS7_ISA_lLm3ESC_lEESG_lLm4ESC_lEENS6_INS7_ISA_KSB_Lm3ESC_lEESG_SK_Lm4ESC_lEENS6_INS7_ISA_SK_Lm2ESC_lEENSF_ILm3ElEESK_Lm3ESC_lEEii.num_vgpr, 20
	.set _ZN2at6native12_GLOBAL__N_136fractional_max_pool2d_out_cuda_frameIfEEvN5torch10headeronly6detail27GenericPackedTensorAccessorINS5_14TensorAccessorIN3c108ArrayRefIlEET_Lm3ENS4_16DefaultPtrTraitsElEENS_6detail16IndexBoundsCheckILm4ElEESB_Lm4ESC_lEENS6_INS7_ISA_lLm3ESC_lEESG_lLm4ESC_lEENS6_INS7_ISA_KSB_Lm3ESC_lEESG_SK_Lm4ESC_lEENS6_INS7_ISA_SK_Lm2ESC_lEENSF_ILm3ElEESK_Lm3ESC_lEEii.num_agpr, 0
	.set _ZN2at6native12_GLOBAL__N_136fractional_max_pool2d_out_cuda_frameIfEEvN5torch10headeronly6detail27GenericPackedTensorAccessorINS5_14TensorAccessorIN3c108ArrayRefIlEET_Lm3ENS4_16DefaultPtrTraitsElEENS_6detail16IndexBoundsCheckILm4ElEESB_Lm4ESC_lEENS6_INS7_ISA_lLm3ESC_lEESG_lLm4ESC_lEENS6_INS7_ISA_KSB_Lm3ESC_lEESG_SK_Lm4ESC_lEENS6_INS7_ISA_SK_Lm2ESC_lEENSF_ILm3ElEESK_Lm3ESC_lEEii.numbered_sgpr, 28
	.set _ZN2at6native12_GLOBAL__N_136fractional_max_pool2d_out_cuda_frameIfEEvN5torch10headeronly6detail27GenericPackedTensorAccessorINS5_14TensorAccessorIN3c108ArrayRefIlEET_Lm3ENS4_16DefaultPtrTraitsElEENS_6detail16IndexBoundsCheckILm4ElEESB_Lm4ESC_lEENS6_INS7_ISA_lLm3ESC_lEESG_lLm4ESC_lEENS6_INS7_ISA_KSB_Lm3ESC_lEESG_SK_Lm4ESC_lEENS6_INS7_ISA_SK_Lm2ESC_lEENSF_ILm3ElEESK_Lm3ESC_lEEii.num_named_barrier, 0
	.set _ZN2at6native12_GLOBAL__N_136fractional_max_pool2d_out_cuda_frameIfEEvN5torch10headeronly6detail27GenericPackedTensorAccessorINS5_14TensorAccessorIN3c108ArrayRefIlEET_Lm3ENS4_16DefaultPtrTraitsElEENS_6detail16IndexBoundsCheckILm4ElEESB_Lm4ESC_lEENS6_INS7_ISA_lLm3ESC_lEESG_lLm4ESC_lEENS6_INS7_ISA_KSB_Lm3ESC_lEESG_SK_Lm4ESC_lEENS6_INS7_ISA_SK_Lm2ESC_lEENSF_ILm3ElEESK_Lm3ESC_lEEii.private_seg_size, 0
	.set _ZN2at6native12_GLOBAL__N_136fractional_max_pool2d_out_cuda_frameIfEEvN5torch10headeronly6detail27GenericPackedTensorAccessorINS5_14TensorAccessorIN3c108ArrayRefIlEET_Lm3ENS4_16DefaultPtrTraitsElEENS_6detail16IndexBoundsCheckILm4ElEESB_Lm4ESC_lEENS6_INS7_ISA_lLm3ESC_lEESG_lLm4ESC_lEENS6_INS7_ISA_KSB_Lm3ESC_lEESG_SK_Lm4ESC_lEENS6_INS7_ISA_SK_Lm2ESC_lEENSF_ILm3ElEESK_Lm3ESC_lEEii.uses_vcc, 1
	.set _ZN2at6native12_GLOBAL__N_136fractional_max_pool2d_out_cuda_frameIfEEvN5torch10headeronly6detail27GenericPackedTensorAccessorINS5_14TensorAccessorIN3c108ArrayRefIlEET_Lm3ENS4_16DefaultPtrTraitsElEENS_6detail16IndexBoundsCheckILm4ElEESB_Lm4ESC_lEENS6_INS7_ISA_lLm3ESC_lEESG_lLm4ESC_lEENS6_INS7_ISA_KSB_Lm3ESC_lEESG_SK_Lm4ESC_lEENS6_INS7_ISA_SK_Lm2ESC_lEENSF_ILm3ElEESK_Lm3ESC_lEEii.uses_flat_scratch, 0
	.set _ZN2at6native12_GLOBAL__N_136fractional_max_pool2d_out_cuda_frameIfEEvN5torch10headeronly6detail27GenericPackedTensorAccessorINS5_14TensorAccessorIN3c108ArrayRefIlEET_Lm3ENS4_16DefaultPtrTraitsElEENS_6detail16IndexBoundsCheckILm4ElEESB_Lm4ESC_lEENS6_INS7_ISA_lLm3ESC_lEESG_lLm4ESC_lEENS6_INS7_ISA_KSB_Lm3ESC_lEESG_SK_Lm4ESC_lEENS6_INS7_ISA_SK_Lm2ESC_lEENSF_ILm3ElEESK_Lm3ESC_lEEii.has_dyn_sized_stack, 0
	.set _ZN2at6native12_GLOBAL__N_136fractional_max_pool2d_out_cuda_frameIfEEvN5torch10headeronly6detail27GenericPackedTensorAccessorINS5_14TensorAccessorIN3c108ArrayRefIlEET_Lm3ENS4_16DefaultPtrTraitsElEENS_6detail16IndexBoundsCheckILm4ElEESB_Lm4ESC_lEENS6_INS7_ISA_lLm3ESC_lEESG_lLm4ESC_lEENS6_INS7_ISA_KSB_Lm3ESC_lEESG_SK_Lm4ESC_lEENS6_INS7_ISA_SK_Lm2ESC_lEENSF_ILm3ElEESK_Lm3ESC_lEEii.has_recursion, 0
	.set _ZN2at6native12_GLOBAL__N_136fractional_max_pool2d_out_cuda_frameIfEEvN5torch10headeronly6detail27GenericPackedTensorAccessorINS5_14TensorAccessorIN3c108ArrayRefIlEET_Lm3ENS4_16DefaultPtrTraitsElEENS_6detail16IndexBoundsCheckILm4ElEESB_Lm4ESC_lEENS6_INS7_ISA_lLm3ESC_lEESG_lLm4ESC_lEENS6_INS7_ISA_KSB_Lm3ESC_lEESG_SK_Lm4ESC_lEENS6_INS7_ISA_SK_Lm2ESC_lEENSF_ILm3ElEESK_Lm3ESC_lEEii.has_indirect_call, 0
	.section	.AMDGPU.csdata,"",@progbits
; Kernel info:
; codeLenInByte = 2348
; TotalNumSgprs: 32
; NumVgprs: 20
; ScratchSize: 0
; MemoryBound: 0
; FloatMode: 240
; IeeeMode: 1
; LDSByteSize: 0 bytes/workgroup (compile time only)
; SGPRBlocks: 3
; VGPRBlocks: 4
; NumSGPRsForWavesPerEU: 32
; NumVGPRsForWavesPerEU: 20
; Occupancy: 10
; WaveLimiterHint : 1
; COMPUTE_PGM_RSRC2:SCRATCH_EN: 0
; COMPUTE_PGM_RSRC2:USER_SGPR: 6
; COMPUTE_PGM_RSRC2:TRAP_HANDLER: 0
; COMPUTE_PGM_RSRC2:TGID_X_EN: 1
; COMPUTE_PGM_RSRC2:TGID_Y_EN: 1
; COMPUTE_PGM_RSRC2:TGID_Z_EN: 1
; COMPUTE_PGM_RSRC2:TIDIG_COMP_CNT: 0
	.section	.text._ZN2at6native12_GLOBAL__N_136fractional_max_pool2d_out_cuda_frameIN3c104HalfEEEvN5torch10headeronly6detail27GenericPackedTensorAccessorINS7_14TensorAccessorINS3_8ArrayRefIlEET_Lm3ENS6_16DefaultPtrTraitsElEENS_6detail16IndexBoundsCheckILm4ElEESC_Lm4ESD_lEENS8_INS9_ISB_lLm3ESD_lEESH_lLm4ESD_lEENS8_INS9_ISB_KSC_Lm3ESD_lEESH_SL_Lm4ESD_lEENS8_INS9_ISB_SL_Lm2ESD_lEENSG_ILm3ElEESL_Lm3ESD_lEEii,"axG",@progbits,_ZN2at6native12_GLOBAL__N_136fractional_max_pool2d_out_cuda_frameIN3c104HalfEEEvN5torch10headeronly6detail27GenericPackedTensorAccessorINS7_14TensorAccessorINS3_8ArrayRefIlEET_Lm3ENS6_16DefaultPtrTraitsElEENS_6detail16IndexBoundsCheckILm4ElEESC_Lm4ESD_lEENS8_INS9_ISB_lLm3ESD_lEESH_lLm4ESD_lEENS8_INS9_ISB_KSC_Lm3ESD_lEESH_SL_Lm4ESD_lEENS8_INS9_ISB_SL_Lm2ESD_lEENSG_ILm3ElEESL_Lm3ESD_lEEii,comdat
	.globl	_ZN2at6native12_GLOBAL__N_136fractional_max_pool2d_out_cuda_frameIN3c104HalfEEEvN5torch10headeronly6detail27GenericPackedTensorAccessorINS7_14TensorAccessorINS3_8ArrayRefIlEET_Lm3ENS6_16DefaultPtrTraitsElEENS_6detail16IndexBoundsCheckILm4ElEESC_Lm4ESD_lEENS8_INS9_ISB_lLm3ESD_lEESH_lLm4ESD_lEENS8_INS9_ISB_KSC_Lm3ESD_lEESH_SL_Lm4ESD_lEENS8_INS9_ISB_SL_Lm2ESD_lEENSG_ILm3ElEESL_Lm3ESD_lEEii ; -- Begin function _ZN2at6native12_GLOBAL__N_136fractional_max_pool2d_out_cuda_frameIN3c104HalfEEEvN5torch10headeronly6detail27GenericPackedTensorAccessorINS7_14TensorAccessorINS3_8ArrayRefIlEET_Lm3ENS6_16DefaultPtrTraitsElEENS_6detail16IndexBoundsCheckILm4ElEESC_Lm4ESD_lEENS8_INS9_ISB_lLm3ESD_lEESH_lLm4ESD_lEENS8_INS9_ISB_KSC_Lm3ESD_lEESH_SL_Lm4ESD_lEENS8_INS9_ISB_SL_Lm2ESD_lEENSG_ILm3ElEESL_Lm3ESD_lEEii
	.p2align	8
	.type	_ZN2at6native12_GLOBAL__N_136fractional_max_pool2d_out_cuda_frameIN3c104HalfEEEvN5torch10headeronly6detail27GenericPackedTensorAccessorINS7_14TensorAccessorINS3_8ArrayRefIlEET_Lm3ENS6_16DefaultPtrTraitsElEENS_6detail16IndexBoundsCheckILm4ElEESC_Lm4ESD_lEENS8_INS9_ISB_lLm3ESD_lEESH_lLm4ESD_lEENS8_INS9_ISB_KSC_Lm3ESD_lEESH_SL_Lm4ESD_lEENS8_INS9_ISB_SL_Lm2ESD_lEENSG_ILm3ElEESL_Lm3ESD_lEEii,@function
_ZN2at6native12_GLOBAL__N_136fractional_max_pool2d_out_cuda_frameIN3c104HalfEEEvN5torch10headeronly6detail27GenericPackedTensorAccessorINS7_14TensorAccessorINS3_8ArrayRefIlEET_Lm3ENS6_16DefaultPtrTraitsElEENS_6detail16IndexBoundsCheckILm4ElEESC_Lm4ESD_lEENS8_INS9_ISB_lLm3ESD_lEESH_lLm4ESD_lEENS8_INS9_ISB_KSC_Lm3ESD_lEESH_SL_Lm4ESD_lEENS8_INS9_ISB_SL_Lm2ESD_lEENSG_ILm3ElEESL_Lm3ESD_lEEii: ; @_ZN2at6native12_GLOBAL__N_136fractional_max_pool2d_out_cuda_frameIN3c104HalfEEEvN5torch10headeronly6detail27GenericPackedTensorAccessorINS7_14TensorAccessorINS3_8ArrayRefIlEET_Lm3ENS6_16DefaultPtrTraitsElEENS_6detail16IndexBoundsCheckILm4ElEESC_Lm4ESD_lEENS8_INS9_ISB_lLm3ESD_lEESH_lLm4ESD_lEENS8_INS9_ISB_KSC_Lm3ESD_lEESH_SL_Lm4ESD_lEENS8_INS9_ISB_SL_Lm2ESD_lEENSG_ILm3ElEESL_Lm3ESD_lEEii
; %bb.0:
	s_load_dword s0, s[4:5], 0x124
	s_load_dwordx4 s[12:15], s[4:5], 0x18
	s_waitcnt lgkmcnt(0)
	s_and_b32 s0, s0, 0xffff
	s_mul_i32 s6, s6, s0
	s_mul_i32 s0, s14, s13
	s_mul_hi_u32 s1, s14, s12
	v_add_u32_e32 v2, s6, v0
	s_add_i32 s0, s1, s0
	s_mul_i32 s1, s15, s12
	v_ashrrev_i32_e32 v3, 31, v2
	s_add_i32 s1, s0, s1
	s_mul_i32 s0, s14, s12
	v_cmp_gt_i64_e32 vcc, s[0:1], v[2:3]
	s_and_saveexec_b64 s[0:1], vcc
	s_cbranch_execz .LBB2_25
; %bb.1:
	v_or_b32_e32 v1, s15, v3
	v_mov_b32_e32 v0, 0
	v_cmp_ne_u64_e32 vcc, 0, v[0:1]
                                        ; implicit-def: $vgpr0_vgpr1
	s_and_saveexec_b64 s[0:1], vcc
	s_xor_b64 s[2:3], exec, s[0:1]
	s_cbranch_execz .LBB2_3
; %bb.2:
	s_ashr_i32 s10, s15, 31
	s_add_u32 s0, s14, s10
	s_mov_b32 s11, s10
	s_addc_u32 s1, s15, s10
	s_xor_b64 s[16:17], s[0:1], s[10:11]
	v_cvt_f32_u32_e32 v0, s16
	v_cvt_f32_u32_e32 v1, s17
	s_sub_u32 s6, 0, s16
	s_subb_u32 s9, 0, s17
	v_ashrrev_i32_e32 v6, 31, v3
	v_madmk_f32 v0, v1, 0x4f800000, v0
	v_rcp_f32_e32 v0, v0
	v_mul_f32_e32 v0, 0x5f7ffffc, v0
	v_mul_f32_e32 v1, 0x2f800000, v0
	v_trunc_f32_e32 v1, v1
	v_madmk_f32 v0, v1, 0xcf800000, v0
	v_cvt_u32_f32_e32 v1, v1
	v_cvt_u32_f32_e32 v0, v0
	v_readfirstlane_b32 s11, v1
	v_readfirstlane_b32 s0, v0
	s_mul_i32 s1, s6, s11
	s_mul_hi_u32 s18, s6, s0
	s_mul_i32 s13, s9, s0
	s_add_i32 s1, s18, s1
	s_add_i32 s1, s1, s13
	s_mul_i32 s19, s6, s0
	s_mul_i32 s18, s0, s1
	s_mul_hi_u32 s20, s0, s19
	s_mul_hi_u32 s13, s0, s1
	s_add_u32 s18, s20, s18
	s_addc_u32 s13, 0, s13
	s_mul_hi_u32 s21, s11, s19
	s_mul_i32 s19, s11, s19
	s_add_u32 s18, s18, s19
	s_mul_hi_u32 s20, s11, s1
	s_addc_u32 s13, s13, s21
	s_addc_u32 s18, s20, 0
	s_mul_i32 s1, s11, s1
	s_add_u32 s1, s13, s1
	s_addc_u32 s13, 0, s18
	s_add_u32 s18, s0, s1
	s_cselect_b64 s[0:1], -1, 0
	s_cmp_lg_u64 s[0:1], 0
	s_addc_u32 s11, s11, s13
	s_mul_i32 s0, s6, s11
	s_mul_hi_u32 s1, s6, s18
	s_add_i32 s0, s1, s0
	s_mul_i32 s9, s9, s18
	s_add_i32 s0, s0, s9
	s_mul_i32 s6, s6, s18
	s_mul_hi_u32 s9, s11, s6
	s_mul_i32 s13, s11, s6
	s_mul_i32 s20, s18, s0
	s_mul_hi_u32 s6, s18, s6
	s_mul_hi_u32 s19, s18, s0
	s_add_u32 s6, s6, s20
	s_addc_u32 s19, 0, s19
	s_add_u32 s6, s6, s13
	s_mul_hi_u32 s1, s11, s0
	s_addc_u32 s6, s19, s9
	s_addc_u32 s1, s1, 0
	s_mul_i32 s0, s11, s0
	s_add_u32 s0, s6, s0
	s_addc_u32 s6, 0, s1
	s_add_u32 s9, s18, s0
	s_cselect_b64 s[0:1], -1, 0
	s_cmp_lg_u64 s[0:1], 0
	v_add_co_u32_e32 v0, vcc, v2, v6
	s_addc_u32 s6, s11, s6
	v_xor_b32_e32 v7, v0, v6
	v_mad_u64_u32 v[0:1], s[0:1], v7, s6, 0
	v_mul_hi_u32 v5, v7, s9
	v_addc_co_u32_e32 v4, vcc, v3, v6, vcc
	v_xor_b32_e32 v8, v4, v6
	v_add_co_u32_e32 v9, vcc, v5, v0
	v_addc_co_u32_e32 v10, vcc, 0, v1, vcc
	v_mad_u64_u32 v[0:1], s[0:1], v8, s9, 0
	v_mad_u64_u32 v[4:5], s[0:1], v8, s6, 0
	v_add_co_u32_e32 v0, vcc, v9, v0
	v_addc_co_u32_e32 v0, vcc, v10, v1, vcc
	v_addc_co_u32_e32 v1, vcc, 0, v5, vcc
	v_add_co_u32_e32 v4, vcc, v0, v4
	v_addc_co_u32_e32 v5, vcc, 0, v1, vcc
	v_mul_lo_u32 v9, s17, v4
	v_mul_lo_u32 v10, s16, v5
	v_mad_u64_u32 v[0:1], s[0:1], s16, v4, 0
	v_add3_u32 v1, v1, v10, v9
	v_sub_u32_e32 v9, v8, v1
	v_mov_b32_e32 v10, s17
	v_sub_co_u32_e32 v0, vcc, v7, v0
	v_subb_co_u32_e64 v7, s[0:1], v9, v10, vcc
	v_subrev_co_u32_e64 v9, s[0:1], s16, v0
	v_subbrev_co_u32_e64 v7, s[0:1], 0, v7, s[0:1]
	v_cmp_le_u32_e64 s[0:1], s17, v7
	v_cndmask_b32_e64 v10, 0, -1, s[0:1]
	v_cmp_le_u32_e64 s[0:1], s16, v9
	v_cndmask_b32_e64 v9, 0, -1, s[0:1]
	v_cmp_eq_u32_e64 s[0:1], s17, v7
	v_cndmask_b32_e64 v7, v10, v9, s[0:1]
	v_add_co_u32_e64 v9, s[0:1], 2, v4
	v_subb_co_u32_e32 v1, vcc, v8, v1, vcc
	v_addc_co_u32_e64 v10, s[0:1], 0, v5, s[0:1]
	v_cmp_le_u32_e32 vcc, s17, v1
	v_add_co_u32_e64 v11, s[0:1], 1, v4
	v_cndmask_b32_e64 v8, 0, -1, vcc
	v_cmp_le_u32_e32 vcc, s16, v0
	v_addc_co_u32_e64 v12, s[0:1], 0, v5, s[0:1]
	v_cndmask_b32_e64 v0, 0, -1, vcc
	v_cmp_eq_u32_e32 vcc, s17, v1
	v_cmp_ne_u32_e64 s[0:1], 0, v7
	v_cndmask_b32_e32 v0, v8, v0, vcc
	v_cndmask_b32_e64 v7, v12, v10, s[0:1]
	v_cmp_ne_u32_e32 vcc, 0, v0
	v_cndmask_b32_e64 v1, v11, v9, s[0:1]
	v_cndmask_b32_e32 v0, v5, v7, vcc
	v_cndmask_b32_e32 v1, v4, v1, vcc
	v_xor_b32_e32 v4, s10, v6
	v_xor_b32_e32 v5, v0, v4
	;; [unrolled: 1-line block ×3, first 2 shown]
	v_sub_co_u32_e32 v0, vcc, v0, v4
	v_subb_co_u32_e32 v1, vcc, v5, v4, vcc
.LBB2_3:
	s_andn2_saveexec_b64 s[0:1], s[2:3]
	s_cbranch_execz .LBB2_5
; %bb.4:
	v_cvt_f32_u32_e32 v0, s14
	s_sub_i32 s2, 0, s14
	v_rcp_iflag_f32_e32 v0, v0
	v_mul_f32_e32 v0, 0x4f7ffffe, v0
	v_cvt_u32_f32_e32 v0, v0
	v_mul_lo_u32 v1, s2, v0
	v_mul_hi_u32 v1, v0, v1
	v_add_u32_e32 v0, v0, v1
	v_mul_hi_u32 v0, v2, v0
	v_mul_lo_u32 v1, v0, s14
	v_add_u32_e32 v4, 1, v0
	v_sub_u32_e32 v1, v2, v1
	v_subrev_u32_e32 v5, s14, v1
	v_cmp_le_u32_e32 vcc, s14, v1
	v_cndmask_b32_e32 v1, v1, v5, vcc
	v_cndmask_b32_e32 v0, v0, v4, vcc
	v_add_u32_e32 v4, 1, v0
	v_cmp_le_u32_e32 vcc, s14, v1
	v_cndmask_b32_e32 v0, v0, v4, vcc
	v_mov_b32_e32 v1, 0
.LBB2_5:
	s_or_b64 exec, exec, s[0:1]
	v_mad_u64_u32 v[4:5], s[0:1], v0, s14, 0
	s_load_dwordx2 s[20:21], s[4:5], 0x110
	s_load_dwordx4 s[0:3], s[4:5], 0xf8
	s_ashr_i32 s6, s8, 31
	s_load_dword s24, s[4:5], 0xb0
	s_load_dwordx2 s[10:11], s[4:5], 0xd8
	v_mul_lo_u32 v1, v1, s14
	v_mul_lo_u32 v6, v0, s15
	s_waitcnt lgkmcnt(0)
	s_mul_hi_u32 s9, s0, s8
	s_mul_i32 s13, s0, s6
	s_add_i32 s9, s9, s13
	s_mul_i32 s1, s1, s8
	s_add_i32 s1, s9, s1
	s_mul_i32 s0, s0, s8
	s_lshl_b64 s[0:1], s[0:1], 1
	s_add_u32 s10, s10, s0
	s_addc_u32 s11, s11, s1
	s_ashr_i32 s9, s7, 31
	s_mul_hi_u32 s0, s2, s7
	s_mul_i32 s1, s2, s9
	s_add_i32 s0, s0, s1
	s_mul_i32 s1, s3, s7
	s_add_i32 s1, s0, s1
	s_mul_i32 s0, s2, s7
	s_lshl_b64 s[0:1], s[0:1], 1
	v_add3_u32 v1, v5, v6, v1
	v_sub_co_u32_e32 v6, vcc, v2, v4
	s_add_u32 s0, s10, s0
	v_subb_co_u32_e32 v7, vcc, v3, v1, vcc
	s_addc_u32 s1, s11, s1
	s_sub_i32 s10, s24, s21
	s_add_i32 s11, s14, -1
	v_cmp_ne_u32_e32 vcc, s11, v6
	v_mov_b32_e32 v8, s10
	s_and_saveexec_b64 s[2:3], vcc
	s_cbranch_execz .LBB2_7
; %bb.6:
	v_mov_b32_e32 v1, 0
	global_load_ushort v1, v1, s[0:1]
	v_cvt_f32_i32_e32 v2, s10
	v_cvt_f32_i32_e32 v3, s11
	v_div_scale_f32 v4, s[10:11], v3, v3, v2
	v_div_scale_f32 v5, vcc, v2, v3, v2
	v_rcp_f32_e32 v8, v4
	v_fma_f32 v9, -v4, v8, 1.0
	v_fmac_f32_e32 v8, v9, v8
	v_mul_f32_e32 v9, v5, v8
	v_fma_f32 v10, -v4, v9, v5
	v_fmac_f32_e32 v9, v10, v8
	v_fma_f32 v4, -v4, v9, v5
	v_div_fmas_f32 v4, v4, v8, v9
	v_cvt_f32_i32_e32 v5, v6
	v_div_fixup_f32 v2, v4, v3, v2
	s_waitcnt vmcnt(0)
	v_cvt_f32_f16_e32 v1, v1
	v_add_f32_e32 v3, v5, v1
	v_mul_f32_e32 v1, v2, v1
	v_mul_f32_e32 v2, v2, v3
	v_cvt_i32_f32_e32 v2, v2
	v_cvt_i32_f32_e32 v1, v1
	v_sub_u32_e32 v8, v2, v1
.LBB2_7:
	s_or_b64 exec, exec, s[2:3]
	s_load_dword s2, s[4:5], 0xa8
	s_add_i32 s10, s12, -1
	v_cmp_ne_u32_e32 vcc, s10, v0
	s_waitcnt lgkmcnt(0)
	s_sub_i32 s11, s2, s20
	v_mov_b32_e32 v9, s11
	s_and_saveexec_b64 s[2:3], vcc
	s_cbranch_execz .LBB2_9
; %bb.8:
	s_load_dwordx2 s[12:13], s[4:5], 0x108
	v_mov_b32_e32 v1, 0
	v_cvt_f32_i32_e32 v2, s11
	v_cvt_f32_i32_e32 v3, s10
	s_waitcnt lgkmcnt(0)
	s_lshl_b64 s[12:13], s[12:13], 1
	s_add_u32 s0, s0, s12
	s_addc_u32 s1, s1, s13
	global_load_ushort v1, v1, s[0:1]
	v_div_scale_f32 v4, s[0:1], v3, v3, v2
	v_div_scale_f32 v5, vcc, v2, v3, v2
	v_rcp_f32_e32 v9, v4
	v_fma_f32 v10, -v4, v9, 1.0
	v_fmac_f32_e32 v9, v10, v9
	v_mul_f32_e32 v10, v5, v9
	v_fma_f32 v11, -v4, v10, v5
	v_fmac_f32_e32 v10, v11, v9
	v_fma_f32 v4, -v4, v10, v5
	v_div_fmas_f32 v4, v4, v9, v10
	v_cvt_f32_i32_e32 v5, v0
	v_div_fixup_f32 v2, v4, v3, v2
	s_waitcnt vmcnt(0)
	v_cvt_f32_f16_e32 v1, v1
	v_add_f32_e32 v3, v5, v1
	v_mul_f32_e32 v1, v2, v1
	v_mul_f32_e32 v2, v2, v3
	v_cvt_i32_f32_e32 v2, v2
	v_cvt_i32_f32_e32 v1, v1
	v_sub_u32_e32 v9, v2, v1
.LBB2_9:
	s_or_b64 exec, exec, s[2:3]
	v_mul_lo_u32 v10, v9, s24
	s_cmp_lt_i32 s20, 1
	v_add_u32_e32 v1, v10, v8
	s_cbranch_scc1 .LBB2_23
; %bb.10:
	s_load_dwordx8 s[12:19], s[4:5], 0xb8
	s_add_i32 s0, s21, -8
	v_ashrrev_i32_e32 v2, 31, v8
	s_cmp_gt_u32 s0, -7
	v_add_u32_e32 v11, s20, v9
	s_waitcnt lgkmcnt(0)
	v_mul_lo_u32 v4, s19, v8
	v_mul_lo_u32 v5, s18, v2
	v_mad_u64_u32 v[2:3], s[2:3], s18, v8, 0
	s_cselect_b64 s[0:1], -1, 0
	s_cmp_gt_i32 s21, 0
	s_mul_i32 s20, s14, s9
	s_mul_hi_u32 s22, s14, s7
	s_cselect_b64 s[2:3], -1, 0
	s_add_i32 s20, s22, s20
	s_mul_i32 s15, s15, s7
	s_add_i32 s15, s20, s15
	s_mul_i32 s14, s14, s7
	v_add3_u32 v3, v3, v5, v4
	s_lshl_b64 s[22:23], s[14:15], 1
	s_mul_i32 s14, s12, s6
	s_mul_hi_u32 s15, s12, s8
	v_ashrrev_i32_e32 v4, 31, v9
	s_add_i32 s20, s15, s14
	s_mul_i32 s13, s13, s8
	v_mul_lo_u32 v13, s17, v9
	v_mul_lo_u32 v14, s16, v4
	v_mad_u64_u32 v[4:5], s[14:15], s16, v9, 0
	s_add_i32 s13, s20, s13
	s_mul_i32 s12, s12, s8
	s_lshl_b64 s[12:13], s[12:13], 1
	s_lshl_b64 s[14:15], s[16:17], 1
	s_lshl_b64 s[16:17], s[18:19], 1
	v_lshlrev_b64 v[2:3], 1, v[2:3]
	s_add_u32 s12, s12, s22
	s_load_dwordx2 s[10:11], s[4:5], 0x90
	v_add3_u32 v5, v5, v14, v13
	s_addc_u32 s13, s13, s23
	v_lshlrev_b64 v[4:5], 1, v[4:5]
	v_mov_b32_e32 v13, s13
	v_add_co_u32_e32 v2, vcc, s12, v2
	v_addc_co_u32_e32 v3, vcc, v13, v3, vcc
	v_add_co_u32_e32 v2, vcc, v2, v4
	v_addc_co_u32_e32 v3, vcc, v3, v5, vcc
	s_waitcnt lgkmcnt(0)
	v_mov_b32_e32 v4, s11
	v_add_co_u32_e32 v2, vcc, s10, v2
	v_addc_co_u32_e32 v3, vcc, v4, v3, vcc
	v_cndmask_b32_e64 v4, 0, 1, s[0:1]
	v_cmp_ne_u32_e64 s[0:1], 1, v4
	v_cndmask_b32_e64 v4, 0, 1, s[2:3]
	v_add_u32_e32 v12, s21, v8
	v_mov_b32_e32 v14, 0xfffffc00
	s_mov_b64 s[18:19], 0
	v_cmp_ne_u32_e64 s[2:3], 1, v4
	v_mov_b32_e32 v15, v1
	s_branch .LBB2_13
.LBB2_11:                               ;   in Loop: Header=BB2_13 Depth=1
	v_mov_b32_e32 v13, v14
	v_mov_b32_e32 v16, v15
.LBB2_12:                               ;   in Loop: Header=BB2_13 Depth=1
	v_mov_b32_e32 v4, s15
	v_add_co_u32_e32 v2, vcc, s14, v2
	v_add_u32_e32 v9, 1, v9
	v_addc_co_u32_e32 v3, vcc, v3, v4, vcc
	v_cmp_ge_i32_e32 vcc, v9, v11
	v_add_u32_e32 v1, s24, v1
	v_add_u32_e32 v10, s24, v10
	s_or_b64 s[18:19], vcc, s[18:19]
	v_mov_b32_e32 v15, v16
	v_mov_b32_e32 v14, v13
	s_andn2_b64 exec, exec, s[18:19]
	s_cbranch_execz .LBB2_22
.LBB2_13:                               ; =>This Loop Header: Depth=1
                                        ;     Child Loop BB2_15 Depth 2
                                        ;     Child Loop BB2_20 Depth 2
	s_and_b64 vcc, exec, s[0:1]
	s_mov_b64 s[10:11], -1
                                        ; implicit-def: $vgpr16
                                        ; implicit-def: $vgpr13
	s_cbranch_vccnz .LBB2_17
; %bb.14:                               ;   in Loop: Header=BB2_13 Depth=1
	v_mov_b32_e32 v5, v3
	s_and_b64 vcc, exec, s[2:3]
	v_mov_b32_e32 v16, v15
	v_mov_b32_e32 v13, v14
	;; [unrolled: 1-line block ×4, first 2 shown]
	s_mov_b32 s12, s21
	s_cbranch_vccnz .LBB2_16
.LBB2_15:                               ;   Parent Loop BB2_13 Depth=1
                                        ; =>  This Inner Loop Header: Depth=2
	global_load_ushort v18, v[4:5], off
	v_mov_b32_e32 v19, s17
	v_add_co_u32_e32 v4, vcc, s16, v4
	v_addc_co_u32_e32 v5, vcc, v5, v19, vcc
	s_add_i32 s12, s12, -1
	s_waitcnt vmcnt(0)
	v_cmp_gt_f16_e32 vcc, v18, v13
	v_cmp_u_f16_e64 s[10:11], v18, v18
	s_or_b64 vcc, vcc, s[10:11]
	v_cndmask_b32_e32 v13, v13, v18, vcc
	v_cndmask_b32_e32 v16, v16, v17, vcc
	s_cmp_lg_u32 s12, 0
	v_add_u32_e32 v17, 1, v17
	s_cbranch_scc1 .LBB2_15
.LBB2_16:                               ;   in Loop: Header=BB2_13 Depth=1
	s_mov_b64 s[10:11], 0
.LBB2_17:                               ;   in Loop: Header=BB2_13 Depth=1
	s_andn2_b64 vcc, exec, s[10:11]
	s_cbranch_vccnz .LBB2_12
; %bb.18:                               ;   in Loop: Header=BB2_13 Depth=1
	s_and_b64 vcc, exec, s[2:3]
	s_cbranch_vccnz .LBB2_11
; %bb.19:                               ;   in Loop: Header=BB2_13 Depth=1
	v_mov_b32_e32 v5, v3
	s_mov_b64 s[22:23], 0
	v_mov_b32_e32 v4, v2
	v_mov_b32_e32 v13, v8
.LBB2_20:                               ;   Parent Loop BB2_13 Depth=1
                                        ; =>  This Inner Loop Header: Depth=2
	global_load_ushort v16, v[4:5], off
	v_mov_b32_e32 v18, s17
	v_add_co_u32_e32 v4, vcc, s16, v4
	v_add_u32_e32 v17, v10, v13
	v_add_u32_e32 v13, 1, v13
	v_addc_co_u32_e32 v5, vcc, v5, v18, vcc
	v_cmp_ge_i32_e32 vcc, v13, v12
	s_waitcnt vmcnt(0)
	v_cmp_gt_f16_e64 s[10:11], v16, v14
	v_cmp_u_f16_e64 s[12:13], v16, v16
	s_or_b64 s[10:11], s[10:11], s[12:13]
	v_cndmask_b32_e64 v14, v14, v16, s[10:11]
	s_or_b64 s[22:23], vcc, s[22:23]
	v_cndmask_b32_e64 v15, v15, v17, s[10:11]
	s_andn2_b64 exec, exec, s[22:23]
	s_cbranch_execnz .LBB2_20
; %bb.21:                               ;   in Loop: Header=BB2_13 Depth=1
	s_or_b64 exec, exec, s[22:23]
	s_branch .LBB2_11
.LBB2_22:
	s_or_b64 exec, exec, s[18:19]
	v_mov_b32_e32 v1, v16
	s_branch .LBB2_24
.LBB2_23:
	v_mov_b32_e32 v13, 0xfffffc00
.LBB2_24:
	s_load_dwordx8 s[20:27], s[4:5], 0x70
	s_load_dwordx2 s[0:1], s[4:5], 0x0
	s_load_dwordx8 s[12:19], s[4:5], 0x28
	s_load_dwordx2 s[2:3], s[4:5], 0x48
	v_ashrrev_i32_e32 v5, 31, v0
	v_ashrrev_i32_e32 v2, 31, v1
	s_waitcnt lgkmcnt(0)
	s_mul_i32 s4, s20, s6
	s_mul_hi_u32 s5, s20, s8
	s_add_i32 s4, s5, s4
	s_mul_i32 s5, s21, s8
	s_add_i32 s5, s4, s5
	s_mul_i32 s4, s20, s8
	s_lshl_b64 s[4:5], s[4:5], 3
	s_add_u32 s10, s2, s4
	s_addc_u32 s11, s3, s5
	s_mul_i32 s2, s22, s9
	s_mul_hi_u32 s3, s22, s7
	s_add_i32 s2, s3, s2
	s_mul_i32 s3, s23, s7
	s_add_i32 s3, s2, s3
	s_mul_i32 s2, s22, s7
	v_mul_lo_u32 v8, s25, v0
	v_mul_lo_u32 v9, s24, v5
	v_mad_u64_u32 v[3:4], s[4:5], s24, v0, 0
	s_lshl_b64 s[2:3], s[2:3], 3
	s_add_u32 s4, s10, s2
	s_addc_u32 s2, s11, s3
	v_add3_u32 v4, v4, v9, v8
	v_mov_b32_e32 v10, s2
	v_mul_lo_u32 v11, s27, v6
	v_mul_lo_u32 v12, s26, v7
	v_mad_u64_u32 v[8:9], s[2:3], s26, v6, 0
	v_lshlrev_b64 v[3:4], 3, v[3:4]
	s_mul_i32 s2, s12, s6
	s_mul_hi_u32 s3, s12, s8
	s_add_i32 s2, s3, s2
	s_mul_i32 s3, s13, s8
	v_add_co_u32_e32 v14, vcc, s4, v3
	v_add3_u32 v9, v9, v12, v11
	s_add_i32 s3, s2, s3
	s_mul_i32 s2, s12, s8
	v_addc_co_u32_e32 v10, vcc, v10, v4, vcc
	v_lshlrev_b64 v[3:4], 3, v[8:9]
	s_lshl_b64 s[2:3], s[2:3], 1
	s_add_u32 s4, s0, s2
	v_add_co_u32_e32 v3, vcc, v14, v3
	s_addc_u32 s5, s1, s3
	s_mul_i32 s0, s14, s9
	s_mul_hi_u32 s1, s14, s7
	v_addc_co_u32_e32 v4, vcc, v10, v4, vcc
	s_add_i32 s0, s1, s0
	s_mul_i32 s1, s15, s7
	global_store_dwordx2 v[3:4], v[1:2], off
	s_add_i32 s1, s0, s1
	s_mul_i32 s0, s14, s7
	v_mul_lo_u32 v2, s17, v0
	v_mul_lo_u32 v3, s16, v5
	v_mad_u64_u32 v[0:1], s[2:3], s16, v0, 0
	s_lshl_b64 s[0:1], s[0:1], 1
	s_add_u32 s2, s4, s0
	s_addc_u32 s0, s5, s1
	v_add3_u32 v1, v1, v3, v2
	v_mov_b32_e32 v4, s0
	v_mul_lo_u32 v5, s19, v6
	v_mul_lo_u32 v7, s18, v7
	v_mad_u64_u32 v[2:3], s[0:1], s18, v6, 0
	v_lshlrev_b64 v[0:1], 1, v[0:1]
	v_add_co_u32_e32 v6, vcc, s2, v0
	v_add3_u32 v3, v3, v7, v5
	v_addc_co_u32_e32 v4, vcc, v4, v1, vcc
	v_lshlrev_b64 v[0:1], 1, v[2:3]
	v_add_co_u32_e32 v0, vcc, v6, v0
	v_addc_co_u32_e32 v1, vcc, v4, v1, vcc
	global_store_short v[0:1], v13, off
.LBB2_25:
	s_endpgm
	.section	.rodata,"a",@progbits
	.p2align	6, 0x0
	.amdhsa_kernel _ZN2at6native12_GLOBAL__N_136fractional_max_pool2d_out_cuda_frameIN3c104HalfEEEvN5torch10headeronly6detail27GenericPackedTensorAccessorINS7_14TensorAccessorINS3_8ArrayRefIlEET_Lm3ENS6_16DefaultPtrTraitsElEENS_6detail16IndexBoundsCheckILm4ElEESC_Lm4ESD_lEENS8_INS9_ISB_lLm3ESD_lEESH_lLm4ESD_lEENS8_INS9_ISB_KSC_Lm3ESD_lEESH_SL_Lm4ESD_lEENS8_INS9_ISB_SL_Lm2ESD_lEENSG_ILm3ElEESL_Lm3ESD_lEEii
		.amdhsa_group_segment_fixed_size 0
		.amdhsa_private_segment_fixed_size 0
		.amdhsa_kernarg_size 536
		.amdhsa_user_sgpr_count 6
		.amdhsa_user_sgpr_private_segment_buffer 1
		.amdhsa_user_sgpr_dispatch_ptr 0
		.amdhsa_user_sgpr_queue_ptr 0
		.amdhsa_user_sgpr_kernarg_segment_ptr 1
		.amdhsa_user_sgpr_dispatch_id 0
		.amdhsa_user_sgpr_flat_scratch_init 0
		.amdhsa_user_sgpr_private_segment_size 0
		.amdhsa_uses_dynamic_stack 0
		.amdhsa_system_sgpr_private_segment_wavefront_offset 0
		.amdhsa_system_sgpr_workgroup_id_x 1
		.amdhsa_system_sgpr_workgroup_id_y 1
		.amdhsa_system_sgpr_workgroup_id_z 1
		.amdhsa_system_sgpr_workgroup_info 0
		.amdhsa_system_vgpr_workitem_id 0
		.amdhsa_next_free_vgpr 20
		.amdhsa_next_free_sgpr 28
		.amdhsa_reserve_vcc 1
		.amdhsa_reserve_flat_scratch 0
		.amdhsa_float_round_mode_32 0
		.amdhsa_float_round_mode_16_64 0
		.amdhsa_float_denorm_mode_32 3
		.amdhsa_float_denorm_mode_16_64 3
		.amdhsa_dx10_clamp 1
		.amdhsa_ieee_mode 1
		.amdhsa_fp16_overflow 0
		.amdhsa_exception_fp_ieee_invalid_op 0
		.amdhsa_exception_fp_denorm_src 0
		.amdhsa_exception_fp_ieee_div_zero 0
		.amdhsa_exception_fp_ieee_overflow 0
		.amdhsa_exception_fp_ieee_underflow 0
		.amdhsa_exception_fp_ieee_inexact 0
		.amdhsa_exception_int_div_zero 0
	.end_amdhsa_kernel
	.section	.text._ZN2at6native12_GLOBAL__N_136fractional_max_pool2d_out_cuda_frameIN3c104HalfEEEvN5torch10headeronly6detail27GenericPackedTensorAccessorINS7_14TensorAccessorINS3_8ArrayRefIlEET_Lm3ENS6_16DefaultPtrTraitsElEENS_6detail16IndexBoundsCheckILm4ElEESC_Lm4ESD_lEENS8_INS9_ISB_lLm3ESD_lEESH_lLm4ESD_lEENS8_INS9_ISB_KSC_Lm3ESD_lEESH_SL_Lm4ESD_lEENS8_INS9_ISB_SL_Lm2ESD_lEENSG_ILm3ElEESL_Lm3ESD_lEEii,"axG",@progbits,_ZN2at6native12_GLOBAL__N_136fractional_max_pool2d_out_cuda_frameIN3c104HalfEEEvN5torch10headeronly6detail27GenericPackedTensorAccessorINS7_14TensorAccessorINS3_8ArrayRefIlEET_Lm3ENS6_16DefaultPtrTraitsElEENS_6detail16IndexBoundsCheckILm4ElEESC_Lm4ESD_lEENS8_INS9_ISB_lLm3ESD_lEESH_lLm4ESD_lEENS8_INS9_ISB_KSC_Lm3ESD_lEESH_SL_Lm4ESD_lEENS8_INS9_ISB_SL_Lm2ESD_lEENSG_ILm3ElEESL_Lm3ESD_lEEii,comdat
.Lfunc_end2:
	.size	_ZN2at6native12_GLOBAL__N_136fractional_max_pool2d_out_cuda_frameIN3c104HalfEEEvN5torch10headeronly6detail27GenericPackedTensorAccessorINS7_14TensorAccessorINS3_8ArrayRefIlEET_Lm3ENS6_16DefaultPtrTraitsElEENS_6detail16IndexBoundsCheckILm4ElEESC_Lm4ESD_lEENS8_INS9_ISB_lLm3ESD_lEESH_lLm4ESD_lEENS8_INS9_ISB_KSC_Lm3ESD_lEESH_SL_Lm4ESD_lEENS8_INS9_ISB_SL_Lm2ESD_lEENSG_ILm3ElEESL_Lm3ESD_lEEii, .Lfunc_end2-_ZN2at6native12_GLOBAL__N_136fractional_max_pool2d_out_cuda_frameIN3c104HalfEEEvN5torch10headeronly6detail27GenericPackedTensorAccessorINS7_14TensorAccessorINS3_8ArrayRefIlEET_Lm3ENS6_16DefaultPtrTraitsElEENS_6detail16IndexBoundsCheckILm4ElEESC_Lm4ESD_lEENS8_INS9_ISB_lLm3ESD_lEESH_lLm4ESD_lEENS8_INS9_ISB_KSC_Lm3ESD_lEESH_SL_Lm4ESD_lEENS8_INS9_ISB_SL_Lm2ESD_lEENSG_ILm3ElEESL_Lm3ESD_lEEii
                                        ; -- End function
	.set _ZN2at6native12_GLOBAL__N_136fractional_max_pool2d_out_cuda_frameIN3c104HalfEEEvN5torch10headeronly6detail27GenericPackedTensorAccessorINS7_14TensorAccessorINS3_8ArrayRefIlEET_Lm3ENS6_16DefaultPtrTraitsElEENS_6detail16IndexBoundsCheckILm4ElEESC_Lm4ESD_lEENS8_INS9_ISB_lLm3ESD_lEESH_lLm4ESD_lEENS8_INS9_ISB_KSC_Lm3ESD_lEESH_SL_Lm4ESD_lEENS8_INS9_ISB_SL_Lm2ESD_lEENSG_ILm3ElEESL_Lm3ESD_lEEii.num_vgpr, 20
	.set _ZN2at6native12_GLOBAL__N_136fractional_max_pool2d_out_cuda_frameIN3c104HalfEEEvN5torch10headeronly6detail27GenericPackedTensorAccessorINS7_14TensorAccessorINS3_8ArrayRefIlEET_Lm3ENS6_16DefaultPtrTraitsElEENS_6detail16IndexBoundsCheckILm4ElEESC_Lm4ESD_lEENS8_INS9_ISB_lLm3ESD_lEESH_lLm4ESD_lEENS8_INS9_ISB_KSC_Lm3ESD_lEESH_SL_Lm4ESD_lEENS8_INS9_ISB_SL_Lm2ESD_lEENSG_ILm3ElEESL_Lm3ESD_lEEii.num_agpr, 0
	.set _ZN2at6native12_GLOBAL__N_136fractional_max_pool2d_out_cuda_frameIN3c104HalfEEEvN5torch10headeronly6detail27GenericPackedTensorAccessorINS7_14TensorAccessorINS3_8ArrayRefIlEET_Lm3ENS6_16DefaultPtrTraitsElEENS_6detail16IndexBoundsCheckILm4ElEESC_Lm4ESD_lEENS8_INS9_ISB_lLm3ESD_lEESH_lLm4ESD_lEENS8_INS9_ISB_KSC_Lm3ESD_lEESH_SL_Lm4ESD_lEENS8_INS9_ISB_SL_Lm2ESD_lEENSG_ILm3ElEESL_Lm3ESD_lEEii.numbered_sgpr, 28
	.set _ZN2at6native12_GLOBAL__N_136fractional_max_pool2d_out_cuda_frameIN3c104HalfEEEvN5torch10headeronly6detail27GenericPackedTensorAccessorINS7_14TensorAccessorINS3_8ArrayRefIlEET_Lm3ENS6_16DefaultPtrTraitsElEENS_6detail16IndexBoundsCheckILm4ElEESC_Lm4ESD_lEENS8_INS9_ISB_lLm3ESD_lEESH_lLm4ESD_lEENS8_INS9_ISB_KSC_Lm3ESD_lEESH_SL_Lm4ESD_lEENS8_INS9_ISB_SL_Lm2ESD_lEENSG_ILm3ElEESL_Lm3ESD_lEEii.num_named_barrier, 0
	.set _ZN2at6native12_GLOBAL__N_136fractional_max_pool2d_out_cuda_frameIN3c104HalfEEEvN5torch10headeronly6detail27GenericPackedTensorAccessorINS7_14TensorAccessorINS3_8ArrayRefIlEET_Lm3ENS6_16DefaultPtrTraitsElEENS_6detail16IndexBoundsCheckILm4ElEESC_Lm4ESD_lEENS8_INS9_ISB_lLm3ESD_lEESH_lLm4ESD_lEENS8_INS9_ISB_KSC_Lm3ESD_lEESH_SL_Lm4ESD_lEENS8_INS9_ISB_SL_Lm2ESD_lEENSG_ILm3ElEESL_Lm3ESD_lEEii.private_seg_size, 0
	.set _ZN2at6native12_GLOBAL__N_136fractional_max_pool2d_out_cuda_frameIN3c104HalfEEEvN5torch10headeronly6detail27GenericPackedTensorAccessorINS7_14TensorAccessorINS3_8ArrayRefIlEET_Lm3ENS6_16DefaultPtrTraitsElEENS_6detail16IndexBoundsCheckILm4ElEESC_Lm4ESD_lEENS8_INS9_ISB_lLm3ESD_lEESH_lLm4ESD_lEENS8_INS9_ISB_KSC_Lm3ESD_lEESH_SL_Lm4ESD_lEENS8_INS9_ISB_SL_Lm2ESD_lEENSG_ILm3ElEESL_Lm3ESD_lEEii.uses_vcc, 1
	.set _ZN2at6native12_GLOBAL__N_136fractional_max_pool2d_out_cuda_frameIN3c104HalfEEEvN5torch10headeronly6detail27GenericPackedTensorAccessorINS7_14TensorAccessorINS3_8ArrayRefIlEET_Lm3ENS6_16DefaultPtrTraitsElEENS_6detail16IndexBoundsCheckILm4ElEESC_Lm4ESD_lEENS8_INS9_ISB_lLm3ESD_lEESH_lLm4ESD_lEENS8_INS9_ISB_KSC_Lm3ESD_lEESH_SL_Lm4ESD_lEENS8_INS9_ISB_SL_Lm2ESD_lEENSG_ILm3ElEESL_Lm3ESD_lEEii.uses_flat_scratch, 0
	.set _ZN2at6native12_GLOBAL__N_136fractional_max_pool2d_out_cuda_frameIN3c104HalfEEEvN5torch10headeronly6detail27GenericPackedTensorAccessorINS7_14TensorAccessorINS3_8ArrayRefIlEET_Lm3ENS6_16DefaultPtrTraitsElEENS_6detail16IndexBoundsCheckILm4ElEESC_Lm4ESD_lEENS8_INS9_ISB_lLm3ESD_lEESH_lLm4ESD_lEENS8_INS9_ISB_KSC_Lm3ESD_lEESH_SL_Lm4ESD_lEENS8_INS9_ISB_SL_Lm2ESD_lEENSG_ILm3ElEESL_Lm3ESD_lEEii.has_dyn_sized_stack, 0
	.set _ZN2at6native12_GLOBAL__N_136fractional_max_pool2d_out_cuda_frameIN3c104HalfEEEvN5torch10headeronly6detail27GenericPackedTensorAccessorINS7_14TensorAccessorINS3_8ArrayRefIlEET_Lm3ENS6_16DefaultPtrTraitsElEENS_6detail16IndexBoundsCheckILm4ElEESC_Lm4ESD_lEENS8_INS9_ISB_lLm3ESD_lEESH_lLm4ESD_lEENS8_INS9_ISB_KSC_Lm3ESD_lEESH_SL_Lm4ESD_lEENS8_INS9_ISB_SL_Lm2ESD_lEENSG_ILm3ElEESL_Lm3ESD_lEEii.has_recursion, 0
	.set _ZN2at6native12_GLOBAL__N_136fractional_max_pool2d_out_cuda_frameIN3c104HalfEEEvN5torch10headeronly6detail27GenericPackedTensorAccessorINS7_14TensorAccessorINS3_8ArrayRefIlEET_Lm3ENS6_16DefaultPtrTraitsElEENS_6detail16IndexBoundsCheckILm4ElEESC_Lm4ESD_lEENS8_INS9_ISB_lLm3ESD_lEESH_lLm4ESD_lEENS8_INS9_ISB_KSC_Lm3ESD_lEESH_SL_Lm4ESD_lEENS8_INS9_ISB_SL_Lm2ESD_lEENSG_ILm3ElEESL_Lm3ESD_lEEii.has_indirect_call, 0
	.section	.AMDGPU.csdata,"",@progbits
; Kernel info:
; codeLenInByte = 2364
; TotalNumSgprs: 32
; NumVgprs: 20
; ScratchSize: 0
; MemoryBound: 0
; FloatMode: 240
; IeeeMode: 1
; LDSByteSize: 0 bytes/workgroup (compile time only)
; SGPRBlocks: 3
; VGPRBlocks: 4
; NumSGPRsForWavesPerEU: 32
; NumVGPRsForWavesPerEU: 20
; Occupancy: 10
; WaveLimiterHint : 1
; COMPUTE_PGM_RSRC2:SCRATCH_EN: 0
; COMPUTE_PGM_RSRC2:USER_SGPR: 6
; COMPUTE_PGM_RSRC2:TRAP_HANDLER: 0
; COMPUTE_PGM_RSRC2:TGID_X_EN: 1
; COMPUTE_PGM_RSRC2:TGID_Y_EN: 1
; COMPUTE_PGM_RSRC2:TGID_Z_EN: 1
; COMPUTE_PGM_RSRC2:TIDIG_COMP_CNT: 0
	.section	.text._ZN2at6native12_GLOBAL__N_136fractional_max_pool2d_out_cuda_frameIN3c108BFloat16EEEvN5torch10headeronly6detail27GenericPackedTensorAccessorINS7_14TensorAccessorINS3_8ArrayRefIlEET_Lm3ENS6_16DefaultPtrTraitsElEENS_6detail16IndexBoundsCheckILm4ElEESC_Lm4ESD_lEENS8_INS9_ISB_lLm3ESD_lEESH_lLm4ESD_lEENS8_INS9_ISB_KSC_Lm3ESD_lEESH_SL_Lm4ESD_lEENS8_INS9_ISB_SL_Lm2ESD_lEENSG_ILm3ElEESL_Lm3ESD_lEEii,"axG",@progbits,_ZN2at6native12_GLOBAL__N_136fractional_max_pool2d_out_cuda_frameIN3c108BFloat16EEEvN5torch10headeronly6detail27GenericPackedTensorAccessorINS7_14TensorAccessorINS3_8ArrayRefIlEET_Lm3ENS6_16DefaultPtrTraitsElEENS_6detail16IndexBoundsCheckILm4ElEESC_Lm4ESD_lEENS8_INS9_ISB_lLm3ESD_lEESH_lLm4ESD_lEENS8_INS9_ISB_KSC_Lm3ESD_lEESH_SL_Lm4ESD_lEENS8_INS9_ISB_SL_Lm2ESD_lEENSG_ILm3ElEESL_Lm3ESD_lEEii,comdat
	.globl	_ZN2at6native12_GLOBAL__N_136fractional_max_pool2d_out_cuda_frameIN3c108BFloat16EEEvN5torch10headeronly6detail27GenericPackedTensorAccessorINS7_14TensorAccessorINS3_8ArrayRefIlEET_Lm3ENS6_16DefaultPtrTraitsElEENS_6detail16IndexBoundsCheckILm4ElEESC_Lm4ESD_lEENS8_INS9_ISB_lLm3ESD_lEESH_lLm4ESD_lEENS8_INS9_ISB_KSC_Lm3ESD_lEESH_SL_Lm4ESD_lEENS8_INS9_ISB_SL_Lm2ESD_lEENSG_ILm3ElEESL_Lm3ESD_lEEii ; -- Begin function _ZN2at6native12_GLOBAL__N_136fractional_max_pool2d_out_cuda_frameIN3c108BFloat16EEEvN5torch10headeronly6detail27GenericPackedTensorAccessorINS7_14TensorAccessorINS3_8ArrayRefIlEET_Lm3ENS6_16DefaultPtrTraitsElEENS_6detail16IndexBoundsCheckILm4ElEESC_Lm4ESD_lEENS8_INS9_ISB_lLm3ESD_lEESH_lLm4ESD_lEENS8_INS9_ISB_KSC_Lm3ESD_lEESH_SL_Lm4ESD_lEENS8_INS9_ISB_SL_Lm2ESD_lEENSG_ILm3ElEESL_Lm3ESD_lEEii
	.p2align	8
	.type	_ZN2at6native12_GLOBAL__N_136fractional_max_pool2d_out_cuda_frameIN3c108BFloat16EEEvN5torch10headeronly6detail27GenericPackedTensorAccessorINS7_14TensorAccessorINS3_8ArrayRefIlEET_Lm3ENS6_16DefaultPtrTraitsElEENS_6detail16IndexBoundsCheckILm4ElEESC_Lm4ESD_lEENS8_INS9_ISB_lLm3ESD_lEESH_lLm4ESD_lEENS8_INS9_ISB_KSC_Lm3ESD_lEESH_SL_Lm4ESD_lEENS8_INS9_ISB_SL_Lm2ESD_lEENSG_ILm3ElEESL_Lm3ESD_lEEii,@function
_ZN2at6native12_GLOBAL__N_136fractional_max_pool2d_out_cuda_frameIN3c108BFloat16EEEvN5torch10headeronly6detail27GenericPackedTensorAccessorINS7_14TensorAccessorINS3_8ArrayRefIlEET_Lm3ENS6_16DefaultPtrTraitsElEENS_6detail16IndexBoundsCheckILm4ElEESC_Lm4ESD_lEENS8_INS9_ISB_lLm3ESD_lEESH_lLm4ESD_lEENS8_INS9_ISB_KSC_Lm3ESD_lEESH_SL_Lm4ESD_lEENS8_INS9_ISB_SL_Lm2ESD_lEENSG_ILm3ElEESL_Lm3ESD_lEEii: ; @_ZN2at6native12_GLOBAL__N_136fractional_max_pool2d_out_cuda_frameIN3c108BFloat16EEEvN5torch10headeronly6detail27GenericPackedTensorAccessorINS7_14TensorAccessorINS3_8ArrayRefIlEET_Lm3ENS6_16DefaultPtrTraitsElEENS_6detail16IndexBoundsCheckILm4ElEESC_Lm4ESD_lEENS8_INS9_ISB_lLm3ESD_lEESH_lLm4ESD_lEENS8_INS9_ISB_KSC_Lm3ESD_lEESH_SL_Lm4ESD_lEENS8_INS9_ISB_SL_Lm2ESD_lEENSG_ILm3ElEESL_Lm3ESD_lEEii
; %bb.0:
	s_load_dword s0, s[4:5], 0x124
	s_load_dwordx4 s[12:15], s[4:5], 0x18
	s_waitcnt lgkmcnt(0)
	s_and_b32 s0, s0, 0xffff
	s_mul_i32 s6, s6, s0
	s_mul_i32 s0, s14, s13
	s_mul_hi_u32 s1, s14, s12
	v_add_u32_e32 v2, s6, v0
	s_add_i32 s0, s1, s0
	s_mul_i32 s1, s15, s12
	v_ashrrev_i32_e32 v3, 31, v2
	s_add_i32 s1, s0, s1
	s_mul_i32 s0, s14, s12
	v_cmp_gt_i64_e32 vcc, s[0:1], v[2:3]
	s_and_saveexec_b64 s[0:1], vcc
	s_cbranch_execz .LBB3_25
; %bb.1:
	v_or_b32_e32 v1, s15, v3
	v_mov_b32_e32 v0, 0
	v_cmp_ne_u64_e32 vcc, 0, v[0:1]
                                        ; implicit-def: $vgpr0_vgpr1
	s_and_saveexec_b64 s[0:1], vcc
	s_xor_b64 s[2:3], exec, s[0:1]
	s_cbranch_execz .LBB3_3
; %bb.2:
	s_ashr_i32 s10, s15, 31
	s_add_u32 s0, s14, s10
	s_mov_b32 s11, s10
	s_addc_u32 s1, s15, s10
	s_xor_b64 s[16:17], s[0:1], s[10:11]
	v_cvt_f32_u32_e32 v0, s16
	v_cvt_f32_u32_e32 v1, s17
	s_sub_u32 s6, 0, s16
	s_subb_u32 s9, 0, s17
	v_ashrrev_i32_e32 v6, 31, v3
	v_madmk_f32 v0, v1, 0x4f800000, v0
	v_rcp_f32_e32 v0, v0
	v_mul_f32_e32 v0, 0x5f7ffffc, v0
	v_mul_f32_e32 v1, 0x2f800000, v0
	v_trunc_f32_e32 v1, v1
	v_madmk_f32 v0, v1, 0xcf800000, v0
	v_cvt_u32_f32_e32 v1, v1
	v_cvt_u32_f32_e32 v0, v0
	v_readfirstlane_b32 s11, v1
	v_readfirstlane_b32 s0, v0
	s_mul_i32 s1, s6, s11
	s_mul_hi_u32 s18, s6, s0
	s_mul_i32 s13, s9, s0
	s_add_i32 s1, s18, s1
	s_add_i32 s1, s1, s13
	s_mul_i32 s19, s6, s0
	s_mul_i32 s18, s0, s1
	s_mul_hi_u32 s20, s0, s19
	s_mul_hi_u32 s13, s0, s1
	s_add_u32 s18, s20, s18
	s_addc_u32 s13, 0, s13
	s_mul_hi_u32 s21, s11, s19
	s_mul_i32 s19, s11, s19
	s_add_u32 s18, s18, s19
	s_mul_hi_u32 s20, s11, s1
	s_addc_u32 s13, s13, s21
	s_addc_u32 s18, s20, 0
	s_mul_i32 s1, s11, s1
	s_add_u32 s1, s13, s1
	s_addc_u32 s13, 0, s18
	s_add_u32 s18, s0, s1
	s_cselect_b64 s[0:1], -1, 0
	s_cmp_lg_u64 s[0:1], 0
	s_addc_u32 s11, s11, s13
	s_mul_i32 s0, s6, s11
	s_mul_hi_u32 s1, s6, s18
	s_add_i32 s0, s1, s0
	s_mul_i32 s9, s9, s18
	s_add_i32 s0, s0, s9
	s_mul_i32 s6, s6, s18
	s_mul_hi_u32 s9, s11, s6
	s_mul_i32 s13, s11, s6
	s_mul_i32 s20, s18, s0
	s_mul_hi_u32 s6, s18, s6
	s_mul_hi_u32 s19, s18, s0
	s_add_u32 s6, s6, s20
	s_addc_u32 s19, 0, s19
	s_add_u32 s6, s6, s13
	s_mul_hi_u32 s1, s11, s0
	s_addc_u32 s6, s19, s9
	s_addc_u32 s1, s1, 0
	s_mul_i32 s0, s11, s0
	s_add_u32 s0, s6, s0
	s_addc_u32 s6, 0, s1
	s_add_u32 s9, s18, s0
	s_cselect_b64 s[0:1], -1, 0
	s_cmp_lg_u64 s[0:1], 0
	v_add_co_u32_e32 v0, vcc, v2, v6
	s_addc_u32 s6, s11, s6
	v_xor_b32_e32 v7, v0, v6
	v_mad_u64_u32 v[0:1], s[0:1], v7, s6, 0
	v_mul_hi_u32 v5, v7, s9
	v_addc_co_u32_e32 v4, vcc, v3, v6, vcc
	v_xor_b32_e32 v8, v4, v6
	v_add_co_u32_e32 v9, vcc, v5, v0
	v_addc_co_u32_e32 v10, vcc, 0, v1, vcc
	v_mad_u64_u32 v[0:1], s[0:1], v8, s9, 0
	v_mad_u64_u32 v[4:5], s[0:1], v8, s6, 0
	v_add_co_u32_e32 v0, vcc, v9, v0
	v_addc_co_u32_e32 v0, vcc, v10, v1, vcc
	v_addc_co_u32_e32 v1, vcc, 0, v5, vcc
	v_add_co_u32_e32 v4, vcc, v0, v4
	v_addc_co_u32_e32 v5, vcc, 0, v1, vcc
	v_mul_lo_u32 v9, s17, v4
	v_mul_lo_u32 v10, s16, v5
	v_mad_u64_u32 v[0:1], s[0:1], s16, v4, 0
	v_add3_u32 v1, v1, v10, v9
	v_sub_u32_e32 v9, v8, v1
	v_mov_b32_e32 v10, s17
	v_sub_co_u32_e32 v0, vcc, v7, v0
	v_subb_co_u32_e64 v7, s[0:1], v9, v10, vcc
	v_subrev_co_u32_e64 v9, s[0:1], s16, v0
	v_subbrev_co_u32_e64 v7, s[0:1], 0, v7, s[0:1]
	v_cmp_le_u32_e64 s[0:1], s17, v7
	v_cndmask_b32_e64 v10, 0, -1, s[0:1]
	v_cmp_le_u32_e64 s[0:1], s16, v9
	v_cndmask_b32_e64 v9, 0, -1, s[0:1]
	v_cmp_eq_u32_e64 s[0:1], s17, v7
	v_cndmask_b32_e64 v7, v10, v9, s[0:1]
	v_add_co_u32_e64 v9, s[0:1], 2, v4
	v_subb_co_u32_e32 v1, vcc, v8, v1, vcc
	v_addc_co_u32_e64 v10, s[0:1], 0, v5, s[0:1]
	v_cmp_le_u32_e32 vcc, s17, v1
	v_add_co_u32_e64 v11, s[0:1], 1, v4
	v_cndmask_b32_e64 v8, 0, -1, vcc
	v_cmp_le_u32_e32 vcc, s16, v0
	v_addc_co_u32_e64 v12, s[0:1], 0, v5, s[0:1]
	v_cndmask_b32_e64 v0, 0, -1, vcc
	v_cmp_eq_u32_e32 vcc, s17, v1
	v_cmp_ne_u32_e64 s[0:1], 0, v7
	v_cndmask_b32_e32 v0, v8, v0, vcc
	v_cndmask_b32_e64 v7, v12, v10, s[0:1]
	v_cmp_ne_u32_e32 vcc, 0, v0
	v_cndmask_b32_e64 v1, v11, v9, s[0:1]
	v_cndmask_b32_e32 v0, v5, v7, vcc
	v_cndmask_b32_e32 v1, v4, v1, vcc
	v_xor_b32_e32 v4, s10, v6
	v_xor_b32_e32 v5, v0, v4
	;; [unrolled: 1-line block ×3, first 2 shown]
	v_sub_co_u32_e32 v0, vcc, v0, v4
	v_subb_co_u32_e32 v1, vcc, v5, v4, vcc
.LBB3_3:
	s_andn2_saveexec_b64 s[0:1], s[2:3]
	s_cbranch_execz .LBB3_5
; %bb.4:
	v_cvt_f32_u32_e32 v0, s14
	s_sub_i32 s2, 0, s14
	v_rcp_iflag_f32_e32 v0, v0
	v_mul_f32_e32 v0, 0x4f7ffffe, v0
	v_cvt_u32_f32_e32 v0, v0
	v_mul_lo_u32 v1, s2, v0
	v_mul_hi_u32 v1, v0, v1
	v_add_u32_e32 v0, v0, v1
	v_mul_hi_u32 v0, v2, v0
	v_mul_lo_u32 v1, v0, s14
	v_add_u32_e32 v4, 1, v0
	v_sub_u32_e32 v1, v2, v1
	v_subrev_u32_e32 v5, s14, v1
	v_cmp_le_u32_e32 vcc, s14, v1
	v_cndmask_b32_e32 v1, v1, v5, vcc
	v_cndmask_b32_e32 v0, v0, v4, vcc
	v_add_u32_e32 v4, 1, v0
	v_cmp_le_u32_e32 vcc, s14, v1
	v_cndmask_b32_e32 v0, v0, v4, vcc
	v_mov_b32_e32 v1, 0
.LBB3_5:
	s_or_b64 exec, exec, s[0:1]
	v_mad_u64_u32 v[4:5], s[0:1], v0, s14, 0
	s_load_dwordx2 s[20:21], s[4:5], 0x110
	s_load_dwordx4 s[0:3], s[4:5], 0xf8
	s_ashr_i32 s6, s8, 31
	s_load_dword s24, s[4:5], 0xb0
	s_load_dwordx2 s[10:11], s[4:5], 0xd8
	v_mul_lo_u32 v1, v1, s14
	v_mul_lo_u32 v6, v0, s15
	s_waitcnt lgkmcnt(0)
	s_mul_hi_u32 s9, s0, s8
	s_mul_i32 s13, s0, s6
	s_add_i32 s9, s9, s13
	s_mul_i32 s1, s1, s8
	s_add_i32 s1, s9, s1
	s_mul_i32 s0, s0, s8
	s_lshl_b64 s[0:1], s[0:1], 1
	s_add_u32 s10, s10, s0
	s_addc_u32 s11, s11, s1
	s_ashr_i32 s9, s7, 31
	s_mul_hi_u32 s0, s2, s7
	s_mul_i32 s1, s2, s9
	s_add_i32 s0, s0, s1
	s_mul_i32 s1, s3, s7
	s_add_i32 s1, s0, s1
	s_mul_i32 s0, s2, s7
	s_lshl_b64 s[0:1], s[0:1], 1
	v_add3_u32 v1, v5, v6, v1
	v_sub_co_u32_e32 v6, vcc, v2, v4
	s_add_u32 s0, s10, s0
	v_subb_co_u32_e32 v7, vcc, v3, v1, vcc
	s_addc_u32 s1, s11, s1
	s_sub_i32 s10, s24, s21
	s_add_i32 s11, s14, -1
	v_cmp_ne_u32_e32 vcc, s11, v6
	v_mov_b32_e32 v8, s10
	s_and_saveexec_b64 s[2:3], vcc
	s_cbranch_execz .LBB3_7
; %bb.6:
	v_mov_b32_e32 v1, 0
	global_load_ushort v1, v1, s[0:1]
	v_cvt_f32_i32_e32 v2, s10
	v_cvt_f32_i32_e32 v3, s11
	v_div_scale_f32 v4, s[10:11], v3, v3, v2
	v_div_scale_f32 v5, vcc, v2, v3, v2
	v_rcp_f32_e32 v8, v4
	v_fma_f32 v9, -v4, v8, 1.0
	v_fmac_f32_e32 v8, v9, v8
	v_mul_f32_e32 v9, v5, v8
	v_fma_f32 v10, -v4, v9, v5
	v_fmac_f32_e32 v9, v10, v8
	v_fma_f32 v4, -v4, v9, v5
	v_div_fmas_f32 v4, v4, v8, v9
	v_cvt_f32_i32_e32 v5, v6
	v_div_fixup_f32 v2, v4, v3, v2
	s_waitcnt vmcnt(0)
	v_lshlrev_b32_e32 v1, 16, v1
	v_add_f32_e32 v3, v5, v1
	v_mul_f32_e32 v1, v2, v1
	v_mul_f32_e32 v2, v2, v3
	v_cvt_i32_f32_e32 v2, v2
	v_cvt_i32_f32_e32 v1, v1
	v_sub_u32_e32 v8, v2, v1
.LBB3_7:
	s_or_b64 exec, exec, s[2:3]
	s_load_dword s2, s[4:5], 0xa8
	s_add_i32 s10, s12, -1
	v_cmp_ne_u32_e32 vcc, s10, v0
	s_waitcnt lgkmcnt(0)
	s_sub_i32 s11, s2, s20
	v_mov_b32_e32 v9, s11
	s_and_saveexec_b64 s[2:3], vcc
	s_cbranch_execz .LBB3_9
; %bb.8:
	s_load_dwordx2 s[12:13], s[4:5], 0x108
	v_mov_b32_e32 v1, 0
	v_cvt_f32_i32_e32 v2, s11
	v_cvt_f32_i32_e32 v3, s10
	s_waitcnt lgkmcnt(0)
	s_lshl_b64 s[12:13], s[12:13], 1
	s_add_u32 s0, s0, s12
	s_addc_u32 s1, s1, s13
	global_load_ushort v1, v1, s[0:1]
	v_div_scale_f32 v4, s[0:1], v3, v3, v2
	v_div_scale_f32 v5, vcc, v2, v3, v2
	v_rcp_f32_e32 v9, v4
	v_fma_f32 v10, -v4, v9, 1.0
	v_fmac_f32_e32 v9, v10, v9
	v_mul_f32_e32 v10, v5, v9
	v_fma_f32 v11, -v4, v10, v5
	v_fmac_f32_e32 v10, v11, v9
	v_fma_f32 v4, -v4, v10, v5
	v_div_fmas_f32 v4, v4, v9, v10
	v_cvt_f32_i32_e32 v5, v0
	v_div_fixup_f32 v2, v4, v3, v2
	s_waitcnt vmcnt(0)
	v_lshlrev_b32_e32 v1, 16, v1
	v_add_f32_e32 v3, v5, v1
	v_mul_f32_e32 v1, v2, v1
	v_mul_f32_e32 v2, v2, v3
	v_cvt_i32_f32_e32 v2, v2
	v_cvt_i32_f32_e32 v1, v1
	v_sub_u32_e32 v9, v2, v1
.LBB3_9:
	s_or_b64 exec, exec, s[2:3]
	v_mul_lo_u32 v10, v9, s24
	s_cmp_lt_i32 s20, 1
	v_add_u32_e32 v1, v10, v8
	s_cbranch_scc1 .LBB3_23
; %bb.10:
	s_load_dwordx8 s[12:19], s[4:5], 0xb8
	s_add_i32 s0, s21, -8
	v_ashrrev_i32_e32 v2, 31, v8
	s_cmp_gt_u32 s0, -7
	v_add_u32_e32 v11, s20, v9
	s_waitcnt lgkmcnt(0)
	v_mul_lo_u32 v4, s19, v8
	v_mul_lo_u32 v5, s18, v2
	v_mad_u64_u32 v[2:3], s[2:3], s18, v8, 0
	s_cselect_b64 s[0:1], -1, 0
	s_cmp_gt_i32 s21, 0
	s_mul_i32 s20, s14, s9
	s_mul_hi_u32 s22, s14, s7
	s_cselect_b64 s[2:3], -1, 0
	s_add_i32 s20, s22, s20
	s_mul_i32 s15, s15, s7
	s_add_i32 s15, s20, s15
	s_mul_i32 s14, s14, s7
	v_add3_u32 v3, v3, v5, v4
	s_lshl_b64 s[22:23], s[14:15], 1
	s_mul_i32 s14, s12, s6
	s_mul_hi_u32 s15, s12, s8
	v_ashrrev_i32_e32 v4, 31, v9
	s_add_i32 s20, s15, s14
	s_mul_i32 s13, s13, s8
	v_mul_lo_u32 v13, s17, v9
	v_mul_lo_u32 v14, s16, v4
	v_mad_u64_u32 v[4:5], s[14:15], s16, v9, 0
	s_add_i32 s13, s20, s13
	s_mul_i32 s12, s12, s8
	s_lshl_b64 s[12:13], s[12:13], 1
	s_lshl_b64 s[14:15], s[16:17], 1
	;; [unrolled: 1-line block ×3, first 2 shown]
	v_lshlrev_b64 v[2:3], 1, v[2:3]
	s_add_u32 s12, s12, s22
	s_load_dwordx2 s[10:11], s[4:5], 0x90
	v_add3_u32 v5, v5, v14, v13
	s_addc_u32 s13, s13, s23
	v_lshlrev_b64 v[4:5], 1, v[4:5]
	v_mov_b32_e32 v13, s13
	v_add_co_u32_e32 v2, vcc, s12, v2
	v_addc_co_u32_e32 v3, vcc, v13, v3, vcc
	v_add_co_u32_e32 v2, vcc, v2, v4
	v_addc_co_u32_e32 v3, vcc, v3, v5, vcc
	s_waitcnt lgkmcnt(0)
	v_mov_b32_e32 v4, s11
	v_add_co_u32_e32 v2, vcc, s10, v2
	v_addc_co_u32_e32 v3, vcc, v4, v3, vcc
	v_cndmask_b32_e64 v4, 0, 1, s[0:1]
	v_cmp_ne_u32_e64 s[0:1], 1, v4
	v_cndmask_b32_e64 v4, 0, 1, s[2:3]
	v_add_u32_e32 v12, s21, v8
	v_mov_b32_e32 v14, 0xffffff80
	s_mov_b64 s[18:19], 0
	v_cmp_ne_u32_e64 s[2:3], 1, v4
	v_mov_b32_e32 v15, v1
	s_branch .LBB3_13
.LBB3_11:                               ;   in Loop: Header=BB3_13 Depth=1
	v_mov_b32_e32 v13, v14
	v_mov_b32_e32 v16, v15
.LBB3_12:                               ;   in Loop: Header=BB3_13 Depth=1
	v_mov_b32_e32 v4, s15
	v_add_co_u32_e32 v2, vcc, s14, v2
	v_add_u32_e32 v9, 1, v9
	v_addc_co_u32_e32 v3, vcc, v3, v4, vcc
	v_cmp_ge_i32_e32 vcc, v9, v11
	v_add_u32_e32 v1, s24, v1
	v_add_u32_e32 v10, s24, v10
	s_or_b64 s[18:19], vcc, s[18:19]
	v_mov_b32_e32 v15, v16
	v_mov_b32_e32 v14, v13
	s_andn2_b64 exec, exec, s[18:19]
	s_cbranch_execz .LBB3_22
.LBB3_13:                               ; =>This Loop Header: Depth=1
                                        ;     Child Loop BB3_15 Depth 2
                                        ;     Child Loop BB3_20 Depth 2
	s_and_b64 vcc, exec, s[0:1]
	s_mov_b64 s[10:11], -1
                                        ; implicit-def: $vgpr16
                                        ; implicit-def: $vgpr13
	s_cbranch_vccnz .LBB3_17
; %bb.14:                               ;   in Loop: Header=BB3_13 Depth=1
	v_mov_b32_e32 v5, v3
	s_and_b64 vcc, exec, s[2:3]
	v_mov_b32_e32 v16, v15
	v_mov_b32_e32 v13, v14
	;; [unrolled: 1-line block ×4, first 2 shown]
	s_mov_b32 s12, s21
	s_cbranch_vccnz .LBB3_16
.LBB3_15:                               ;   Parent Loop BB3_13 Depth=1
                                        ; =>  This Inner Loop Header: Depth=2
	global_load_ushort v18, v[4:5], off
	v_mov_b32_e32 v20, s17
	v_add_co_u32_e32 v4, vcc, s16, v4
	v_lshlrev_b32_e32 v19, 16, v13
	v_addc_co_u32_e32 v5, vcc, v5, v20, vcc
	s_add_i32 s12, s12, -1
	s_waitcnt vmcnt(0)
	v_lshlrev_b32_e32 v20, 16, v18
	v_cmp_gt_f32_e32 vcc, v20, v19
	v_cmp_u_f32_e64 s[10:11], v20, v20
	s_or_b64 vcc, vcc, s[10:11]
	v_cndmask_b32_e32 v13, v13, v18, vcc
	v_cndmask_b32_e32 v16, v16, v17, vcc
	s_cmp_lg_u32 s12, 0
	v_add_u32_e32 v17, 1, v17
	s_cbranch_scc1 .LBB3_15
.LBB3_16:                               ;   in Loop: Header=BB3_13 Depth=1
	s_mov_b64 s[10:11], 0
.LBB3_17:                               ;   in Loop: Header=BB3_13 Depth=1
	s_andn2_b64 vcc, exec, s[10:11]
	s_cbranch_vccnz .LBB3_12
; %bb.18:                               ;   in Loop: Header=BB3_13 Depth=1
	s_and_b64 vcc, exec, s[2:3]
	s_cbranch_vccnz .LBB3_11
; %bb.19:                               ;   in Loop: Header=BB3_13 Depth=1
	v_mov_b32_e32 v5, v3
	s_mov_b64 s[22:23], 0
	v_mov_b32_e32 v4, v2
	v_mov_b32_e32 v13, v8
.LBB3_20:                               ;   Parent Loop BB3_13 Depth=1
                                        ; =>  This Inner Loop Header: Depth=2
	global_load_ushort v16, v[4:5], off
	v_mov_b32_e32 v19, s17
	v_add_co_u32_e32 v4, vcc, s16, v4
	v_lshlrev_b32_e32 v17, 16, v14
	v_addc_co_u32_e32 v5, vcc, v5, v19, vcc
	v_add_u32_e32 v18, v10, v13
	v_add_u32_e32 v13, 1, v13
	v_cmp_ge_i32_e32 vcc, v13, v12
	s_waitcnt vmcnt(0)
	v_lshlrev_b32_e32 v19, 16, v16
	v_cmp_gt_f32_e64 s[10:11], v19, v17
	v_cmp_u_f32_e64 s[12:13], v19, v19
	s_or_b64 s[10:11], s[10:11], s[12:13]
	v_cndmask_b32_e64 v14, v14, v16, s[10:11]
	s_or_b64 s[22:23], vcc, s[22:23]
	v_cndmask_b32_e64 v15, v15, v18, s[10:11]
	s_andn2_b64 exec, exec, s[22:23]
	s_cbranch_execnz .LBB3_20
; %bb.21:                               ;   in Loop: Header=BB3_13 Depth=1
	s_or_b64 exec, exec, s[22:23]
	s_branch .LBB3_11
.LBB3_22:
	s_or_b64 exec, exec, s[18:19]
	v_mov_b32_e32 v1, v16
	s_branch .LBB3_24
.LBB3_23:
	v_mov_b32_e32 v13, 0xffffff80
.LBB3_24:
	s_load_dwordx8 s[20:27], s[4:5], 0x70
	s_load_dwordx2 s[0:1], s[4:5], 0x0
	s_load_dwordx8 s[12:19], s[4:5], 0x28
	s_load_dwordx2 s[2:3], s[4:5], 0x48
	v_ashrrev_i32_e32 v5, 31, v0
	v_ashrrev_i32_e32 v2, 31, v1
	s_waitcnt lgkmcnt(0)
	s_mul_i32 s4, s20, s6
	s_mul_hi_u32 s5, s20, s8
	s_add_i32 s4, s5, s4
	s_mul_i32 s5, s21, s8
	s_add_i32 s5, s4, s5
	s_mul_i32 s4, s20, s8
	s_lshl_b64 s[4:5], s[4:5], 3
	s_add_u32 s10, s2, s4
	s_addc_u32 s11, s3, s5
	s_mul_i32 s2, s22, s9
	s_mul_hi_u32 s3, s22, s7
	s_add_i32 s2, s3, s2
	s_mul_i32 s3, s23, s7
	s_add_i32 s3, s2, s3
	s_mul_i32 s2, s22, s7
	v_mul_lo_u32 v8, s25, v0
	v_mul_lo_u32 v9, s24, v5
	v_mad_u64_u32 v[3:4], s[4:5], s24, v0, 0
	s_lshl_b64 s[2:3], s[2:3], 3
	s_add_u32 s4, s10, s2
	s_addc_u32 s2, s11, s3
	v_add3_u32 v4, v4, v9, v8
	v_mov_b32_e32 v10, s2
	v_mul_lo_u32 v11, s27, v6
	v_mul_lo_u32 v12, s26, v7
	v_mad_u64_u32 v[8:9], s[2:3], s26, v6, 0
	v_lshlrev_b64 v[3:4], 3, v[3:4]
	s_mul_i32 s2, s12, s6
	s_mul_hi_u32 s3, s12, s8
	s_add_i32 s2, s3, s2
	s_mul_i32 s3, s13, s8
	v_add_co_u32_e32 v14, vcc, s4, v3
	v_add3_u32 v9, v9, v12, v11
	s_add_i32 s3, s2, s3
	s_mul_i32 s2, s12, s8
	v_addc_co_u32_e32 v10, vcc, v10, v4, vcc
	v_lshlrev_b64 v[3:4], 3, v[8:9]
	s_lshl_b64 s[2:3], s[2:3], 1
	s_add_u32 s4, s0, s2
	v_add_co_u32_e32 v3, vcc, v14, v3
	s_addc_u32 s5, s1, s3
	s_mul_i32 s0, s14, s9
	s_mul_hi_u32 s1, s14, s7
	v_addc_co_u32_e32 v4, vcc, v10, v4, vcc
	s_add_i32 s0, s1, s0
	s_mul_i32 s1, s15, s7
	global_store_dwordx2 v[3:4], v[1:2], off
	s_add_i32 s1, s0, s1
	s_mul_i32 s0, s14, s7
	v_mul_lo_u32 v2, s17, v0
	v_mul_lo_u32 v3, s16, v5
	v_mad_u64_u32 v[0:1], s[2:3], s16, v0, 0
	s_lshl_b64 s[0:1], s[0:1], 1
	s_add_u32 s2, s4, s0
	s_addc_u32 s0, s5, s1
	v_add3_u32 v1, v1, v3, v2
	v_mov_b32_e32 v4, s0
	v_mul_lo_u32 v5, s19, v6
	v_mul_lo_u32 v7, s18, v7
	v_mad_u64_u32 v[2:3], s[0:1], s18, v6, 0
	v_lshlrev_b64 v[0:1], 1, v[0:1]
	v_add_co_u32_e32 v6, vcc, s2, v0
	v_add3_u32 v3, v3, v7, v5
	v_addc_co_u32_e32 v4, vcc, v4, v1, vcc
	v_lshlrev_b64 v[0:1], 1, v[2:3]
	v_add_co_u32_e32 v0, vcc, v6, v0
	v_addc_co_u32_e32 v1, vcc, v4, v1, vcc
	global_store_short v[0:1], v13, off
.LBB3_25:
	s_endpgm
	.section	.rodata,"a",@progbits
	.p2align	6, 0x0
	.amdhsa_kernel _ZN2at6native12_GLOBAL__N_136fractional_max_pool2d_out_cuda_frameIN3c108BFloat16EEEvN5torch10headeronly6detail27GenericPackedTensorAccessorINS7_14TensorAccessorINS3_8ArrayRefIlEET_Lm3ENS6_16DefaultPtrTraitsElEENS_6detail16IndexBoundsCheckILm4ElEESC_Lm4ESD_lEENS8_INS9_ISB_lLm3ESD_lEESH_lLm4ESD_lEENS8_INS9_ISB_KSC_Lm3ESD_lEESH_SL_Lm4ESD_lEENS8_INS9_ISB_SL_Lm2ESD_lEENSG_ILm3ElEESL_Lm3ESD_lEEii
		.amdhsa_group_segment_fixed_size 0
		.amdhsa_private_segment_fixed_size 0
		.amdhsa_kernarg_size 536
		.amdhsa_user_sgpr_count 6
		.amdhsa_user_sgpr_private_segment_buffer 1
		.amdhsa_user_sgpr_dispatch_ptr 0
		.amdhsa_user_sgpr_queue_ptr 0
		.amdhsa_user_sgpr_kernarg_segment_ptr 1
		.amdhsa_user_sgpr_dispatch_id 0
		.amdhsa_user_sgpr_flat_scratch_init 0
		.amdhsa_user_sgpr_private_segment_size 0
		.amdhsa_uses_dynamic_stack 0
		.amdhsa_system_sgpr_private_segment_wavefront_offset 0
		.amdhsa_system_sgpr_workgroup_id_x 1
		.amdhsa_system_sgpr_workgroup_id_y 1
		.amdhsa_system_sgpr_workgroup_id_z 1
		.amdhsa_system_sgpr_workgroup_info 0
		.amdhsa_system_vgpr_workitem_id 0
		.amdhsa_next_free_vgpr 21
		.amdhsa_next_free_sgpr 28
		.amdhsa_reserve_vcc 1
		.amdhsa_reserve_flat_scratch 0
		.amdhsa_float_round_mode_32 0
		.amdhsa_float_round_mode_16_64 0
		.amdhsa_float_denorm_mode_32 3
		.amdhsa_float_denorm_mode_16_64 3
		.amdhsa_dx10_clamp 1
		.amdhsa_ieee_mode 1
		.amdhsa_fp16_overflow 0
		.amdhsa_exception_fp_ieee_invalid_op 0
		.amdhsa_exception_fp_denorm_src 0
		.amdhsa_exception_fp_ieee_div_zero 0
		.amdhsa_exception_fp_ieee_overflow 0
		.amdhsa_exception_fp_ieee_underflow 0
		.amdhsa_exception_fp_ieee_inexact 0
		.amdhsa_exception_int_div_zero 0
	.end_amdhsa_kernel
	.section	.text._ZN2at6native12_GLOBAL__N_136fractional_max_pool2d_out_cuda_frameIN3c108BFloat16EEEvN5torch10headeronly6detail27GenericPackedTensorAccessorINS7_14TensorAccessorINS3_8ArrayRefIlEET_Lm3ENS6_16DefaultPtrTraitsElEENS_6detail16IndexBoundsCheckILm4ElEESC_Lm4ESD_lEENS8_INS9_ISB_lLm3ESD_lEESH_lLm4ESD_lEENS8_INS9_ISB_KSC_Lm3ESD_lEESH_SL_Lm4ESD_lEENS8_INS9_ISB_SL_Lm2ESD_lEENSG_ILm3ElEESL_Lm3ESD_lEEii,"axG",@progbits,_ZN2at6native12_GLOBAL__N_136fractional_max_pool2d_out_cuda_frameIN3c108BFloat16EEEvN5torch10headeronly6detail27GenericPackedTensorAccessorINS7_14TensorAccessorINS3_8ArrayRefIlEET_Lm3ENS6_16DefaultPtrTraitsElEENS_6detail16IndexBoundsCheckILm4ElEESC_Lm4ESD_lEENS8_INS9_ISB_lLm3ESD_lEESH_lLm4ESD_lEENS8_INS9_ISB_KSC_Lm3ESD_lEESH_SL_Lm4ESD_lEENS8_INS9_ISB_SL_Lm2ESD_lEENSG_ILm3ElEESL_Lm3ESD_lEEii,comdat
.Lfunc_end3:
	.size	_ZN2at6native12_GLOBAL__N_136fractional_max_pool2d_out_cuda_frameIN3c108BFloat16EEEvN5torch10headeronly6detail27GenericPackedTensorAccessorINS7_14TensorAccessorINS3_8ArrayRefIlEET_Lm3ENS6_16DefaultPtrTraitsElEENS_6detail16IndexBoundsCheckILm4ElEESC_Lm4ESD_lEENS8_INS9_ISB_lLm3ESD_lEESH_lLm4ESD_lEENS8_INS9_ISB_KSC_Lm3ESD_lEESH_SL_Lm4ESD_lEENS8_INS9_ISB_SL_Lm2ESD_lEENSG_ILm3ElEESL_Lm3ESD_lEEii, .Lfunc_end3-_ZN2at6native12_GLOBAL__N_136fractional_max_pool2d_out_cuda_frameIN3c108BFloat16EEEvN5torch10headeronly6detail27GenericPackedTensorAccessorINS7_14TensorAccessorINS3_8ArrayRefIlEET_Lm3ENS6_16DefaultPtrTraitsElEENS_6detail16IndexBoundsCheckILm4ElEESC_Lm4ESD_lEENS8_INS9_ISB_lLm3ESD_lEESH_lLm4ESD_lEENS8_INS9_ISB_KSC_Lm3ESD_lEESH_SL_Lm4ESD_lEENS8_INS9_ISB_SL_Lm2ESD_lEENSG_ILm3ElEESL_Lm3ESD_lEEii
                                        ; -- End function
	.set _ZN2at6native12_GLOBAL__N_136fractional_max_pool2d_out_cuda_frameIN3c108BFloat16EEEvN5torch10headeronly6detail27GenericPackedTensorAccessorINS7_14TensorAccessorINS3_8ArrayRefIlEET_Lm3ENS6_16DefaultPtrTraitsElEENS_6detail16IndexBoundsCheckILm4ElEESC_Lm4ESD_lEENS8_INS9_ISB_lLm3ESD_lEESH_lLm4ESD_lEENS8_INS9_ISB_KSC_Lm3ESD_lEESH_SL_Lm4ESD_lEENS8_INS9_ISB_SL_Lm2ESD_lEENSG_ILm3ElEESL_Lm3ESD_lEEii.num_vgpr, 21
	.set _ZN2at6native12_GLOBAL__N_136fractional_max_pool2d_out_cuda_frameIN3c108BFloat16EEEvN5torch10headeronly6detail27GenericPackedTensorAccessorINS7_14TensorAccessorINS3_8ArrayRefIlEET_Lm3ENS6_16DefaultPtrTraitsElEENS_6detail16IndexBoundsCheckILm4ElEESC_Lm4ESD_lEENS8_INS9_ISB_lLm3ESD_lEESH_lLm4ESD_lEENS8_INS9_ISB_KSC_Lm3ESD_lEESH_SL_Lm4ESD_lEENS8_INS9_ISB_SL_Lm2ESD_lEENSG_ILm3ElEESL_Lm3ESD_lEEii.num_agpr, 0
	.set _ZN2at6native12_GLOBAL__N_136fractional_max_pool2d_out_cuda_frameIN3c108BFloat16EEEvN5torch10headeronly6detail27GenericPackedTensorAccessorINS7_14TensorAccessorINS3_8ArrayRefIlEET_Lm3ENS6_16DefaultPtrTraitsElEENS_6detail16IndexBoundsCheckILm4ElEESC_Lm4ESD_lEENS8_INS9_ISB_lLm3ESD_lEESH_lLm4ESD_lEENS8_INS9_ISB_KSC_Lm3ESD_lEESH_SL_Lm4ESD_lEENS8_INS9_ISB_SL_Lm2ESD_lEENSG_ILm3ElEESL_Lm3ESD_lEEii.numbered_sgpr, 28
	.set _ZN2at6native12_GLOBAL__N_136fractional_max_pool2d_out_cuda_frameIN3c108BFloat16EEEvN5torch10headeronly6detail27GenericPackedTensorAccessorINS7_14TensorAccessorINS3_8ArrayRefIlEET_Lm3ENS6_16DefaultPtrTraitsElEENS_6detail16IndexBoundsCheckILm4ElEESC_Lm4ESD_lEENS8_INS9_ISB_lLm3ESD_lEESH_lLm4ESD_lEENS8_INS9_ISB_KSC_Lm3ESD_lEESH_SL_Lm4ESD_lEENS8_INS9_ISB_SL_Lm2ESD_lEENSG_ILm3ElEESL_Lm3ESD_lEEii.num_named_barrier, 0
	.set _ZN2at6native12_GLOBAL__N_136fractional_max_pool2d_out_cuda_frameIN3c108BFloat16EEEvN5torch10headeronly6detail27GenericPackedTensorAccessorINS7_14TensorAccessorINS3_8ArrayRefIlEET_Lm3ENS6_16DefaultPtrTraitsElEENS_6detail16IndexBoundsCheckILm4ElEESC_Lm4ESD_lEENS8_INS9_ISB_lLm3ESD_lEESH_lLm4ESD_lEENS8_INS9_ISB_KSC_Lm3ESD_lEESH_SL_Lm4ESD_lEENS8_INS9_ISB_SL_Lm2ESD_lEENSG_ILm3ElEESL_Lm3ESD_lEEii.private_seg_size, 0
	.set _ZN2at6native12_GLOBAL__N_136fractional_max_pool2d_out_cuda_frameIN3c108BFloat16EEEvN5torch10headeronly6detail27GenericPackedTensorAccessorINS7_14TensorAccessorINS3_8ArrayRefIlEET_Lm3ENS6_16DefaultPtrTraitsElEENS_6detail16IndexBoundsCheckILm4ElEESC_Lm4ESD_lEENS8_INS9_ISB_lLm3ESD_lEESH_lLm4ESD_lEENS8_INS9_ISB_KSC_Lm3ESD_lEESH_SL_Lm4ESD_lEENS8_INS9_ISB_SL_Lm2ESD_lEENSG_ILm3ElEESL_Lm3ESD_lEEii.uses_vcc, 1
	.set _ZN2at6native12_GLOBAL__N_136fractional_max_pool2d_out_cuda_frameIN3c108BFloat16EEEvN5torch10headeronly6detail27GenericPackedTensorAccessorINS7_14TensorAccessorINS3_8ArrayRefIlEET_Lm3ENS6_16DefaultPtrTraitsElEENS_6detail16IndexBoundsCheckILm4ElEESC_Lm4ESD_lEENS8_INS9_ISB_lLm3ESD_lEESH_lLm4ESD_lEENS8_INS9_ISB_KSC_Lm3ESD_lEESH_SL_Lm4ESD_lEENS8_INS9_ISB_SL_Lm2ESD_lEENSG_ILm3ElEESL_Lm3ESD_lEEii.uses_flat_scratch, 0
	.set _ZN2at6native12_GLOBAL__N_136fractional_max_pool2d_out_cuda_frameIN3c108BFloat16EEEvN5torch10headeronly6detail27GenericPackedTensorAccessorINS7_14TensorAccessorINS3_8ArrayRefIlEET_Lm3ENS6_16DefaultPtrTraitsElEENS_6detail16IndexBoundsCheckILm4ElEESC_Lm4ESD_lEENS8_INS9_ISB_lLm3ESD_lEESH_lLm4ESD_lEENS8_INS9_ISB_KSC_Lm3ESD_lEESH_SL_Lm4ESD_lEENS8_INS9_ISB_SL_Lm2ESD_lEENSG_ILm3ElEESL_Lm3ESD_lEEii.has_dyn_sized_stack, 0
	.set _ZN2at6native12_GLOBAL__N_136fractional_max_pool2d_out_cuda_frameIN3c108BFloat16EEEvN5torch10headeronly6detail27GenericPackedTensorAccessorINS7_14TensorAccessorINS3_8ArrayRefIlEET_Lm3ENS6_16DefaultPtrTraitsElEENS_6detail16IndexBoundsCheckILm4ElEESC_Lm4ESD_lEENS8_INS9_ISB_lLm3ESD_lEESH_lLm4ESD_lEENS8_INS9_ISB_KSC_Lm3ESD_lEESH_SL_Lm4ESD_lEENS8_INS9_ISB_SL_Lm2ESD_lEENSG_ILm3ElEESL_Lm3ESD_lEEii.has_recursion, 0
	.set _ZN2at6native12_GLOBAL__N_136fractional_max_pool2d_out_cuda_frameIN3c108BFloat16EEEvN5torch10headeronly6detail27GenericPackedTensorAccessorINS7_14TensorAccessorINS3_8ArrayRefIlEET_Lm3ENS6_16DefaultPtrTraitsElEENS_6detail16IndexBoundsCheckILm4ElEESC_Lm4ESD_lEENS8_INS9_ISB_lLm3ESD_lEESH_lLm4ESD_lEENS8_INS9_ISB_KSC_Lm3ESD_lEESH_SL_Lm4ESD_lEENS8_INS9_ISB_SL_Lm2ESD_lEENSG_ILm3ElEESL_Lm3ESD_lEEii.has_indirect_call, 0
	.section	.AMDGPU.csdata,"",@progbits
; Kernel info:
; codeLenInByte = 2380
; TotalNumSgprs: 32
; NumVgprs: 21
; ScratchSize: 0
; MemoryBound: 0
; FloatMode: 240
; IeeeMode: 1
; LDSByteSize: 0 bytes/workgroup (compile time only)
; SGPRBlocks: 3
; VGPRBlocks: 5
; NumSGPRsForWavesPerEU: 32
; NumVGPRsForWavesPerEU: 21
; Occupancy: 10
; WaveLimiterHint : 1
; COMPUTE_PGM_RSRC2:SCRATCH_EN: 0
; COMPUTE_PGM_RSRC2:USER_SGPR: 6
; COMPUTE_PGM_RSRC2:TRAP_HANDLER: 0
; COMPUTE_PGM_RSRC2:TGID_X_EN: 1
; COMPUTE_PGM_RSRC2:TGID_Y_EN: 1
; COMPUTE_PGM_RSRC2:TGID_Z_EN: 1
; COMPUTE_PGM_RSRC2:TIDIG_COMP_CNT: 0
	.section	.text._ZN2at6native12_GLOBAL__N_145fractional_max_pool2d_backward_out_cuda_frameIdEEvN5torch10headeronly6detail27GenericPackedTensorAccessorINS5_14TensorAccessorIN3c108ArrayRefIlEET_Lm3ENS4_16DefaultPtrTraitsElEENS_6detail16IndexBoundsCheckILm4ElEESB_Lm4ESC_lEENS6_INS7_ISA_KSB_Lm3ESC_lEESG_SI_Lm4ESC_lEENS6_INS7_ISA_KlLm3ESC_lEESG_SL_Lm4ESC_lEE,"axG",@progbits,_ZN2at6native12_GLOBAL__N_145fractional_max_pool2d_backward_out_cuda_frameIdEEvN5torch10headeronly6detail27GenericPackedTensorAccessorINS5_14TensorAccessorIN3c108ArrayRefIlEET_Lm3ENS4_16DefaultPtrTraitsElEENS_6detail16IndexBoundsCheckILm4ElEESB_Lm4ESC_lEENS6_INS7_ISA_KSB_Lm3ESC_lEESG_SI_Lm4ESC_lEENS6_INS7_ISA_KlLm3ESC_lEESG_SL_Lm4ESC_lEE,comdat
	.globl	_ZN2at6native12_GLOBAL__N_145fractional_max_pool2d_backward_out_cuda_frameIdEEvN5torch10headeronly6detail27GenericPackedTensorAccessorINS5_14TensorAccessorIN3c108ArrayRefIlEET_Lm3ENS4_16DefaultPtrTraitsElEENS_6detail16IndexBoundsCheckILm4ElEESB_Lm4ESC_lEENS6_INS7_ISA_KSB_Lm3ESC_lEESG_SI_Lm4ESC_lEENS6_INS7_ISA_KlLm3ESC_lEESG_SL_Lm4ESC_lEE ; -- Begin function _ZN2at6native12_GLOBAL__N_145fractional_max_pool2d_backward_out_cuda_frameIdEEvN5torch10headeronly6detail27GenericPackedTensorAccessorINS5_14TensorAccessorIN3c108ArrayRefIlEET_Lm3ENS4_16DefaultPtrTraitsElEENS_6detail16IndexBoundsCheckILm4ElEESB_Lm4ESC_lEENS6_INS7_ISA_KSB_Lm3ESC_lEESG_SI_Lm4ESC_lEENS6_INS7_ISA_KlLm3ESC_lEESG_SL_Lm4ESC_lEE
	.p2align	8
	.type	_ZN2at6native12_GLOBAL__N_145fractional_max_pool2d_backward_out_cuda_frameIdEEvN5torch10headeronly6detail27GenericPackedTensorAccessorINS5_14TensorAccessorIN3c108ArrayRefIlEET_Lm3ENS4_16DefaultPtrTraitsElEENS_6detail16IndexBoundsCheckILm4ElEESB_Lm4ESC_lEENS6_INS7_ISA_KSB_Lm3ESC_lEESG_SI_Lm4ESC_lEENS6_INS7_ISA_KlLm3ESC_lEESG_SL_Lm4ESC_lEE,@function
_ZN2at6native12_GLOBAL__N_145fractional_max_pool2d_backward_out_cuda_frameIdEEvN5torch10headeronly6detail27GenericPackedTensorAccessorINS5_14TensorAccessorIN3c108ArrayRefIlEET_Lm3ENS4_16DefaultPtrTraitsElEENS_6detail16IndexBoundsCheckILm4ElEESB_Lm4ESC_lEENS6_INS7_ISA_KSB_Lm3ESC_lEESG_SI_Lm4ESC_lEENS6_INS7_ISA_KlLm3ESC_lEESG_SL_Lm4ESC_lEE: ; @_ZN2at6native12_GLOBAL__N_145fractional_max_pool2d_backward_out_cuda_frameIdEEvN5torch10headeronly6detail27GenericPackedTensorAccessorINS5_14TensorAccessorIN3c108ArrayRefIlEET_Lm3ENS4_16DefaultPtrTraitsElEENS_6detail16IndexBoundsCheckILm4ElEESB_Lm4ESC_lEENS6_INS7_ISA_KSB_Lm3ESC_lEESG_SI_Lm4ESC_lEENS6_INS7_ISA_KlLm3ESC_lEESG_SL_Lm4ESC_lEE
; %bb.0:
	s_load_dword s9, s[4:5], 0xe4
	s_load_dwordx4 s[0:3], s[4:5], 0x60
	s_waitcnt lgkmcnt(0)
	s_and_b32 s9, s9, 0xffff
	s_mul_i32 s6, s6, s9
	v_add_u32_e32 v2, s6, v0
	s_mul_i32 s1, s2, s1
	s_mul_hi_u32 s6, s2, s0
	s_add_i32 s1, s6, s1
	s_mul_i32 s6, s3, s0
	v_ashrrev_i32_e32 v3, 31, v2
	s_add_i32 s1, s1, s6
	s_mul_i32 s0, s2, s0
	v_cmp_gt_i64_e32 vcc, s[0:1], v[2:3]
	s_and_saveexec_b64 s[0:1], vcc
	s_cbranch_execz .LBB4_19
; %bb.1:
	v_or_b32_e32 v1, s3, v3
	v_mov_b32_e32 v0, 0
	v_cmp_ne_u64_e32 vcc, 0, v[0:1]
                                        ; implicit-def: $vgpr0_vgpr1
	s_and_saveexec_b64 s[0:1], vcc
	s_xor_b64 s[10:11], exec, s[0:1]
	s_cbranch_execz .LBB4_3
; %bb.2:
	s_ashr_i32 s12, s3, 31
	s_add_u32 s0, s2, s12
	s_mov_b32 s13, s12
	s_addc_u32 s1, s3, s12
	s_xor_b64 s[14:15], s[0:1], s[12:13]
	v_cvt_f32_u32_e32 v0, s14
	v_cvt_f32_u32_e32 v1, s15
	s_sub_u32 s6, 0, s14
	s_subb_u32 s9, 0, s15
	v_ashrrev_i32_e32 v6, 31, v3
	v_madmk_f32 v0, v1, 0x4f800000, v0
	v_rcp_f32_e32 v0, v0
	v_mul_f32_e32 v0, 0x5f7ffffc, v0
	v_mul_f32_e32 v1, 0x2f800000, v0
	v_trunc_f32_e32 v1, v1
	v_madmk_f32 v0, v1, 0xcf800000, v0
	v_cvt_u32_f32_e32 v1, v1
	v_cvt_u32_f32_e32 v0, v0
	v_readfirstlane_b32 s13, v1
	v_readfirstlane_b32 s0, v0
	s_mul_i32 s1, s6, s13
	s_mul_hi_u32 s17, s6, s0
	s_mul_i32 s16, s9, s0
	s_add_i32 s1, s17, s1
	s_add_i32 s1, s1, s16
	s_mul_i32 s18, s6, s0
	s_mul_i32 s17, s0, s1
	s_mul_hi_u32 s19, s0, s18
	s_mul_hi_u32 s16, s0, s1
	s_add_u32 s17, s19, s17
	s_addc_u32 s16, 0, s16
	s_mul_hi_u32 s20, s13, s18
	s_mul_i32 s18, s13, s18
	s_add_u32 s17, s17, s18
	s_mul_hi_u32 s19, s13, s1
	s_addc_u32 s16, s16, s20
	s_addc_u32 s17, s19, 0
	s_mul_i32 s1, s13, s1
	s_add_u32 s1, s16, s1
	s_addc_u32 s16, 0, s17
	s_add_u32 s17, s0, s1
	s_cselect_b64 s[0:1], -1, 0
	s_cmp_lg_u64 s[0:1], 0
	s_addc_u32 s13, s13, s16
	s_mul_i32 s0, s6, s13
	s_mul_hi_u32 s1, s6, s17
	s_add_i32 s0, s1, s0
	s_mul_i32 s9, s9, s17
	s_add_i32 s0, s0, s9
	s_mul_i32 s6, s6, s17
	s_mul_hi_u32 s9, s13, s6
	s_mul_i32 s16, s13, s6
	s_mul_i32 s19, s17, s0
	s_mul_hi_u32 s6, s17, s6
	s_mul_hi_u32 s18, s17, s0
	s_add_u32 s6, s6, s19
	s_addc_u32 s18, 0, s18
	s_add_u32 s6, s6, s16
	s_mul_hi_u32 s1, s13, s0
	s_addc_u32 s6, s18, s9
	s_addc_u32 s1, s1, 0
	s_mul_i32 s0, s13, s0
	s_add_u32 s0, s6, s0
	s_addc_u32 s6, 0, s1
	s_add_u32 s9, s17, s0
	s_cselect_b64 s[0:1], -1, 0
	s_cmp_lg_u64 s[0:1], 0
	v_add_co_u32_e32 v0, vcc, v2, v6
	s_addc_u32 s6, s13, s6
	v_xor_b32_e32 v7, v0, v6
	v_mad_u64_u32 v[0:1], s[0:1], v7, s6, 0
	v_mul_hi_u32 v5, v7, s9
	v_addc_co_u32_e32 v4, vcc, v3, v6, vcc
	v_xor_b32_e32 v8, v4, v6
	v_add_co_u32_e32 v9, vcc, v5, v0
	v_addc_co_u32_e32 v10, vcc, 0, v1, vcc
	v_mad_u64_u32 v[0:1], s[0:1], v8, s9, 0
	v_mad_u64_u32 v[4:5], s[0:1], v8, s6, 0
	v_add_co_u32_e32 v0, vcc, v9, v0
	v_addc_co_u32_e32 v0, vcc, v10, v1, vcc
	v_addc_co_u32_e32 v1, vcc, 0, v5, vcc
	v_add_co_u32_e32 v4, vcc, v0, v4
	v_addc_co_u32_e32 v5, vcc, 0, v1, vcc
	v_mul_lo_u32 v9, s15, v4
	v_mul_lo_u32 v10, s14, v5
	v_mad_u64_u32 v[0:1], s[0:1], s14, v4, 0
	v_add3_u32 v1, v1, v10, v9
	v_sub_u32_e32 v9, v8, v1
	v_mov_b32_e32 v10, s15
	v_sub_co_u32_e32 v0, vcc, v7, v0
	v_subb_co_u32_e64 v7, s[0:1], v9, v10, vcc
	v_subrev_co_u32_e64 v9, s[0:1], s14, v0
	v_subbrev_co_u32_e64 v7, s[0:1], 0, v7, s[0:1]
	v_cmp_le_u32_e64 s[0:1], s15, v7
	v_cndmask_b32_e64 v10, 0, -1, s[0:1]
	v_cmp_le_u32_e64 s[0:1], s14, v9
	v_cndmask_b32_e64 v9, 0, -1, s[0:1]
	v_cmp_eq_u32_e64 s[0:1], s15, v7
	v_cndmask_b32_e64 v7, v10, v9, s[0:1]
	v_add_co_u32_e64 v9, s[0:1], 2, v4
	v_subb_co_u32_e32 v1, vcc, v8, v1, vcc
	v_addc_co_u32_e64 v10, s[0:1], 0, v5, s[0:1]
	v_cmp_le_u32_e32 vcc, s15, v1
	v_add_co_u32_e64 v11, s[0:1], 1, v4
	v_cndmask_b32_e64 v8, 0, -1, vcc
	v_cmp_le_u32_e32 vcc, s14, v0
	v_addc_co_u32_e64 v12, s[0:1], 0, v5, s[0:1]
	v_cndmask_b32_e64 v0, 0, -1, vcc
	v_cmp_eq_u32_e32 vcc, s15, v1
	v_cmp_ne_u32_e64 s[0:1], 0, v7
	v_cndmask_b32_e32 v0, v8, v0, vcc
	v_cndmask_b32_e64 v7, v12, v10, s[0:1]
	v_cmp_ne_u32_e32 vcc, 0, v0
	v_cndmask_b32_e64 v1, v11, v9, s[0:1]
	v_cndmask_b32_e32 v0, v5, v7, vcc
	v_cndmask_b32_e32 v1, v4, v1, vcc
	v_xor_b32_e32 v4, s12, v6
	v_xor_b32_e32 v5, v0, v4
	;; [unrolled: 1-line block ×3, first 2 shown]
	v_sub_co_u32_e32 v0, vcc, v0, v4
	v_subb_co_u32_e32 v1, vcc, v5, v4, vcc
.LBB4_3:
	s_andn2_saveexec_b64 s[0:1], s[10:11]
	s_cbranch_execz .LBB4_5
; %bb.4:
	v_cvt_f32_u32_e32 v0, s2
	s_sub_i32 s6, 0, s2
	v_rcp_iflag_f32_e32 v0, v0
	v_mul_f32_e32 v0, 0x4f7ffffe, v0
	v_cvt_u32_f32_e32 v0, v0
	v_mul_lo_u32 v1, s6, v0
	v_mul_hi_u32 v1, v0, v1
	v_add_u32_e32 v0, v0, v1
	v_mul_hi_u32 v0, v2, v0
	v_mul_lo_u32 v1, v0, s2
	v_add_u32_e32 v4, 1, v0
	v_sub_u32_e32 v1, v2, v1
	v_subrev_u32_e32 v5, s2, v1
	v_cmp_le_u32_e32 vcc, s2, v1
	v_cndmask_b32_e32 v1, v1, v5, vcc
	v_cndmask_b32_e32 v0, v0, v4, vcc
	v_add_u32_e32 v4, 1, v0
	v_cmp_le_u32_e32 vcc, s2, v1
	v_cndmask_b32_e32 v0, v0, v4, vcc
	v_mov_b32_e32 v1, 0
.LBB4_5:
	s_or_b64 exec, exec, s[0:1]
	s_load_dwordx8 s[12:19], s[4:5], 0xb8
	v_mad_u64_u32 v[4:5], s[0:1], v0, s2, 0
	s_ashr_i32 s6, s8, 31
	s_load_dwordx2 s[0:1], s[4:5], 0x90
	v_mul_lo_u32 v1, v1, s2
	v_mul_lo_u32 v6, v0, s3
	s_waitcnt lgkmcnt(0)
	s_mul_hi_u32 s2, s12, s8
	s_mul_i32 s3, s12, s6
	s_add_i32 s2, s2, s3
	s_mul_i32 s3, s13, s8
	s_add_i32 s3, s2, s3
	s_mul_i32 s2, s12, s8
	s_lshl_b64 s[2:3], s[2:3], 3
	s_add_u32 s10, s0, s2
	s_addc_u32 s11, s1, s3
	s_ashr_i32 s9, s7, 31
	s_mul_hi_u32 s0, s14, s7
	s_mul_i32 s1, s14, s9
	v_add3_u32 v1, v5, v6, v1
	v_sub_co_u32_e32 v9, vcc, v2, v4
	s_add_i32 s0, s0, s1
	s_mul_i32 s1, s15, s7
	v_ashrrev_i32_e32 v11, 31, v0
	v_subb_co_u32_e32 v10, vcc, v3, v1, vcc
	s_add_i32 s1, s0, s1
	s_mul_i32 s0, s14, s7
	v_mul_lo_u32 v3, s17, v0
	v_mul_lo_u32 v4, s16, v11
	v_mad_u64_u32 v[1:2], s[2:3], s16, v0, 0
	s_lshl_b64 s[0:1], s[0:1], 3
	s_add_u32 s2, s10, s0
	s_addc_u32 s0, s11, s1
	v_add3_u32 v2, v2, v4, v3
	v_mov_b32_e32 v5, s0
	v_mul_lo_u32 v6, s19, v9
	v_mul_lo_u32 v7, s18, v10
	v_mad_u64_u32 v[3:4], s[0:1], s18, v9, 0
	v_lshlrev_b64 v[1:2], 3, v[1:2]
	s_mov_b64 s[0:1], 0
	v_add_co_u32_e32 v8, vcc, s2, v1
	v_add3_u32 v4, v4, v7, v6
	v_addc_co_u32_e32 v5, vcc, v5, v2, vcc
	v_lshlrev_b64 v[1:2], 3, v[3:4]
	s_mov_b64 s[2:3], 0
	v_add_co_u32_e32 v1, vcc, v8, v1
	v_addc_co_u32_e32 v2, vcc, v5, v2, vcc
	global_load_dwordx2 v[7:8], v[1:2], off
	s_waitcnt vmcnt(0)
	v_and_b32_e32 v1, 0x80000000, v7
	v_cmp_ne_u32_e32 vcc, 0, v1
	s_and_saveexec_b64 s[10:11], vcc
	s_xor_b64 s[10:11], exec, s[10:11]
	s_cbranch_execnz .LBB4_14
; %bb.6:
	s_or_saveexec_b64 s[10:11], s[10:11]
                                        ; implicit-def: $vgpr3_vgpr4
                                        ; implicit-def: $vgpr5_vgpr6
                                        ; implicit-def: $vgpr1_vgpr2
	s_xor_b64 exec, exec, s[10:11]
	s_cbranch_execz .LBB4_15
.LBB4_7:
	s_load_dwordx2 s[12:13], s[4:5], 0x20
	s_mov_b32 s0, 0
	v_and_b32_e32 v1, 0x7fffffff, v7
	v_mov_b32_e32 v2, 0
	s_waitcnt lgkmcnt(0)
	s_mov_b32 s1, s13
	s_cmp_lg_u64 s[0:1], 0
	s_cbranch_scc0 .LBB4_13
; %bb.8:
	s_ashr_i32 s14, s13, 31
	s_add_u32 s0, s12, s14
	s_mov_b32 s15, s14
	s_addc_u32 s1, s13, s14
	s_xor_b64 s[16:17], s[0:1], s[14:15]
	v_cvt_f32_u32_e32 v3, s16
	v_cvt_f32_u32_e32 v4, s17
	s_sub_u32 s15, 0, s16
	s_subb_u32 s18, 0, s17
	v_add_co_u32_e32 v7, vcc, 0, v1
	v_madmk_f32 v3, v4, 0x4f800000, v3
	v_rcp_f32_e32 v3, v3
	v_mul_f32_e32 v3, 0x5f7ffffc, v3
	v_mul_f32_e32 v4, 0x2f800000, v3
	v_trunc_f32_e32 v4, v4
	v_madmk_f32 v3, v4, 0xcf800000, v3
	v_cvt_u32_f32_e32 v4, v4
	v_cvt_u32_f32_e32 v3, v3
	v_readfirstlane_b32 s19, v4
	v_readfirstlane_b32 s0, v3
	s_mul_i32 s1, s15, s19
	s_mul_hi_u32 s21, s15, s0
	s_mul_i32 s20, s18, s0
	s_add_i32 s1, s21, s1
	s_add_i32 s1, s1, s20
	s_mul_i32 s22, s15, s0
	s_mul_i32 s21, s0, s1
	s_mul_hi_u32 s23, s0, s22
	s_mul_hi_u32 s20, s0, s1
	s_add_u32 s21, s23, s21
	s_addc_u32 s20, 0, s20
	s_mul_hi_u32 s24, s19, s22
	s_mul_i32 s22, s19, s22
	s_add_u32 s21, s21, s22
	s_mul_hi_u32 s23, s19, s1
	s_addc_u32 s20, s20, s24
	s_addc_u32 s21, s23, 0
	s_mul_i32 s1, s19, s1
	s_add_u32 s1, s20, s1
	s_addc_u32 s20, 0, s21
	s_add_u32 s21, s0, s1
	s_cselect_b64 s[0:1], -1, 0
	s_cmp_lg_u64 s[0:1], 0
	s_addc_u32 s19, s19, s20
	s_mul_i32 s0, s15, s19
	s_mul_hi_u32 s1, s15, s21
	s_add_i32 s0, s1, s0
	s_mul_i32 s18, s18, s21
	s_add_i32 s0, s0, s18
	s_mul_i32 s15, s15, s21
	s_mul_hi_u32 s18, s19, s15
	s_mul_i32 s20, s19, s15
	s_mul_i32 s23, s21, s0
	s_mul_hi_u32 s15, s21, s15
	s_mul_hi_u32 s22, s21, s0
	s_add_u32 s15, s15, s23
	s_addc_u32 s22, 0, s22
	s_add_u32 s15, s15, s20
	s_mul_hi_u32 s1, s19, s0
	s_addc_u32 s15, s22, s18
	s_addc_u32 s1, s1, 0
	s_mul_i32 s0, s19, s0
	s_add_u32 s0, s15, s0
	s_addc_u32 s15, 0, s1
	s_add_u32 s18, s21, s0
	s_cselect_b64 s[0:1], -1, 0
	s_cmp_lg_u64 s[0:1], 0
	s_addc_u32 s15, s19, s15
	v_mad_u64_u32 v[3:4], s[0:1], v7, s15, 0
	v_mul_hi_u32 v5, v7, s18
	v_addc_co_u32_e64 v8, s[0:1], 0, 0, vcc
	v_add_co_u32_e32 v12, vcc, v5, v3
	v_addc_co_u32_e32 v13, vcc, 0, v4, vcc
	v_mad_u64_u32 v[3:4], s[0:1], v8, s18, 0
	v_mad_u64_u32 v[5:6], s[0:1], v8, s15, 0
	v_add_co_u32_e32 v3, vcc, v12, v3
	v_addc_co_u32_e32 v3, vcc, v13, v4, vcc
	v_addc_co_u32_e32 v4, vcc, 0, v6, vcc
	v_add_co_u32_e32 v5, vcc, v3, v5
	v_addc_co_u32_e32 v6, vcc, 0, v4, vcc
	v_mul_lo_u32 v12, s17, v5
	v_mul_lo_u32 v13, s16, v6
	v_mad_u64_u32 v[3:4], s[0:1], s16, v5, 0
	v_add3_u32 v4, v4, v13, v12
	v_sub_u32_e32 v12, v8, v4
	v_mov_b32_e32 v13, s17
	v_sub_co_u32_e32 v3, vcc, v7, v3
	v_subb_co_u32_e64 v7, s[0:1], v12, v13, vcc
	v_subrev_co_u32_e64 v12, s[0:1], s16, v3
	v_subbrev_co_u32_e64 v7, s[0:1], 0, v7, s[0:1]
	v_cmp_le_u32_e64 s[0:1], s17, v7
	v_cndmask_b32_e64 v13, 0, -1, s[0:1]
	v_cmp_le_u32_e64 s[0:1], s16, v12
	v_cndmask_b32_e64 v12, 0, -1, s[0:1]
	v_cmp_eq_u32_e64 s[0:1], s17, v7
	v_cndmask_b32_e64 v7, v13, v12, s[0:1]
	v_add_co_u32_e64 v12, s[0:1], 2, v5
	v_subb_co_u32_e32 v4, vcc, v8, v4, vcc
	v_addc_co_u32_e64 v13, s[0:1], 0, v6, s[0:1]
	v_cmp_le_u32_e32 vcc, s17, v4
	v_add_co_u32_e64 v14, s[0:1], 1, v5
	v_cndmask_b32_e64 v8, 0, -1, vcc
	v_cmp_le_u32_e32 vcc, s16, v3
	v_addc_co_u32_e64 v15, s[0:1], 0, v6, s[0:1]
	v_cndmask_b32_e64 v3, 0, -1, vcc
	v_cmp_eq_u32_e32 vcc, s17, v4
	v_cmp_ne_u32_e64 s[0:1], 0, v7
	v_cndmask_b32_e32 v3, v8, v3, vcc
	v_cndmask_b32_e64 v7, v15, v13, s[0:1]
	v_cmp_ne_u32_e32 vcc, 0, v3
	v_cndmask_b32_e64 v4, v14, v12, s[0:1]
	v_cndmask_b32_e32 v3, v6, v7, vcc
	v_cndmask_b32_e32 v4, v5, v4, vcc
	v_xor_b32_e32 v5, s14, v3
	v_xor_b32_e32 v3, s14, v4
	v_mov_b32_e32 v4, s14
	v_subrev_co_u32_e32 v3, vcc, s14, v3
	v_subb_co_u32_e32 v4, vcc, v5, v4, vcc
	s_cbranch_execnz .LBB4_10
.LBB4_9:
	v_cvt_f32_u32_e32 v3, s12
	s_sub_i32 s0, 0, s12
	v_rcp_iflag_f32_e32 v3, v3
	v_mul_f32_e32 v3, 0x4f7ffffe, v3
	v_cvt_u32_f32_e32 v3, v3
	v_mul_lo_u32 v4, s0, v3
	v_mul_hi_u32 v4, v3, v4
	v_add_u32_e32 v3, v3, v4
	v_mul_hi_u32 v3, v1, v3
	v_mul_lo_u32 v4, v3, s12
	v_add_u32_e32 v5, 1, v3
	v_sub_u32_e32 v4, v1, v4
	v_subrev_u32_e32 v6, s12, v4
	v_cmp_le_u32_e32 vcc, s12, v4
	v_cndmask_b32_e32 v4, v4, v6, vcc
	v_cndmask_b32_e32 v3, v3, v5, vcc
	v_add_u32_e32 v5, 1, v3
	v_cmp_le_u32_e32 vcc, s12, v4
	v_cndmask_b32_e32 v3, v3, v5, vcc
	v_mov_b32_e32 v4, 0
.LBB4_10:
	s_load_dwordx2 s[0:1], s[4:5], 0x18
	s_mov_b64 s[14:15], s[2:3]
	s_waitcnt lgkmcnt(0)
	v_cmp_le_i64_e32 vcc, s[0:1], v[3:4]
	s_mov_b64 s[0:1], -1
	s_and_saveexec_b64 s[16:17], vcc
	s_cbranch_execnz .LBB4_20
.LBB4_11:
	s_or_b64 exec, exec, s[16:17]
	v_mov_b32_e32 v5, s12
	v_mov_b32_e32 v6, s13
	s_andn2_b64 s[2:3], s[2:3], exec
	s_and_b64 s[12:13], s[14:15], exec
	s_and_b64 s[0:1], s[0:1], exec
	s_or_b64 s[2:3], s[2:3], s[12:13]
	s_or_b64 exec, exec, s[10:11]
	s_and_saveexec_b64 s[10:11], s[2:3]
	s_cbranch_execnz .LBB4_16
.LBB4_12:
	s_or_b64 exec, exec, s[10:11]
	s_and_b64 exec, exec, s[0:1]
	s_cbranch_execnz .LBB4_17
	s_branch .LBB4_19
.LBB4_13:
                                        ; implicit-def: $vgpr3_vgpr4
	s_branch .LBB4_9
.LBB4_14:
	s_mov_b64 s[2:3], exec
	s_trap 2
                                        ; implicit-def: $vgpr7_vgpr8
	s_or_saveexec_b64 s[10:11], s[10:11]
                                        ; implicit-def: $vgpr3_vgpr4
                                        ; implicit-def: $vgpr5_vgpr6
                                        ; implicit-def: $vgpr1_vgpr2
	s_xor_b64 exec, exec, s[10:11]
	s_cbranch_execnz .LBB4_7
.LBB4_15:
	s_or_b64 exec, exec, s[10:11]
	s_and_saveexec_b64 s[10:11], s[2:3]
	s_cbranch_execz .LBB4_12
.LBB4_16:
	; divergent unreachable
	s_or_b64 exec, exec, s[10:11]
	s_and_b64 exec, exec, s[0:1]
	s_cbranch_execz .LBB4_19
.LBB4_17:
	s_load_dwordx8 s[12:19], s[4:5], 0x28
	v_mul_lo_u32 v7, v4, v5
	v_mul_lo_u32 v8, v3, v6
	v_mad_u64_u32 v[5:6], s[0:1], v3, v5, 0
	s_load_dwordx2 s[0:1], s[4:5], 0x0
	s_load_dwordx2 s[2:3], s[4:5], 0x48
	s_waitcnt lgkmcnt(0)
	s_mul_i32 s10, s12, s6
	s_mul_hi_u32 s11, s12, s8
	s_add_i32 s10, s11, s10
	s_mul_i32 s11, s13, s8
	s_add_i32 s11, s10, s11
	s_mul_i32 s10, s12, s8
	s_lshl_b64 s[10:11], s[10:11], 3
	s_add_u32 s12, s0, s10
	s_addc_u32 s13, s1, s11
	s_mul_i32 s0, s14, s9
	s_mul_hi_u32 s1, s14, s7
	v_add3_u32 v6, v6, v8, v7
	v_sub_co_u32_e32 v5, vcc, v1, v5
	s_add_i32 s0, s1, s0
	s_mul_i32 s1, s15, s7
	v_subb_co_u32_e32 v6, vcc, v2, v6, vcc
	s_add_i32 s1, s0, s1
	s_mul_i32 s0, s14, s7
	v_mul_lo_u32 v7, s17, v3
	v_mul_lo_u32 v4, s16, v4
	v_mad_u64_u32 v[1:2], s[10:11], s16, v3, 0
	s_lshl_b64 s[0:1], s[0:1], 3
	s_add_u32 s10, s12, s0
	s_addc_u32 s0, s13, s1
	v_add3_u32 v2, v2, v4, v7
	v_mov_b32_e32 v7, s0
	v_mul_lo_u32 v8, s19, v5
	v_mul_lo_u32 v6, s18, v6
	v_mad_u64_u32 v[3:4], s[0:1], s18, v5, 0
	s_load_dwordx8 s[12:19], s[4:5], 0x70
	v_lshlrev_b64 v[1:2], 3, v[1:2]
	v_add3_u32 v4, v4, v6, v8
	v_add_co_u32_e32 v5, vcc, s10, v1
	s_waitcnt lgkmcnt(0)
	s_mul_i32 s0, s12, s6
	s_mul_hi_u32 s1, s12, s8
	s_add_i32 s0, s1, s0
	s_mul_i32 s1, s13, s8
	s_add_i32 s1, s0, s1
	s_mul_i32 s0, s12, s8
	s_lshl_b64 s[0:1], s[0:1], 3
	v_addc_co_u32_e32 v7, vcc, v7, v2, vcc
	v_lshlrev_b64 v[1:2], 3, v[3:4]
	s_add_u32 s4, s2, s0
	s_addc_u32 s5, s3, s1
	s_mul_i32 s0, s14, s9
	s_mul_hi_u32 s1, s14, s7
	v_add_co_u32_e32 v4, vcc, v5, v1
	s_add_i32 s0, s1, s0
	s_mul_i32 s1, s15, s7
	v_addc_co_u32_e32 v5, vcc, v7, v2, vcc
	s_add_i32 s1, s0, s1
	s_mul_i32 s0, s14, s7
	v_mul_lo_u32 v2, s17, v0
	v_mul_lo_u32 v3, s16, v11
	v_mad_u64_u32 v[0:1], s[2:3], s16, v0, 0
	s_lshl_b64 s[0:1], s[0:1], 3
	s_add_u32 s2, s4, s0
	s_addc_u32 s0, s5, s1
	v_add3_u32 v1, v1, v3, v2
	v_mov_b32_e32 v6, s0
	v_mul_lo_u32 v7, s19, v9
	v_mul_lo_u32 v8, s18, v10
	v_mad_u64_u32 v[2:3], s[0:1], s18, v9, 0
	v_lshlrev_b64 v[0:1], 3, v[0:1]
	s_mov_b64 s[0:1], 0
	v_add_co_u32_e32 v9, vcc, s2, v0
	v_add3_u32 v3, v3, v8, v7
	v_addc_co_u32_e32 v6, vcc, v6, v1, vcc
	v_lshlrev_b64 v[0:1], 3, v[2:3]
	v_add_co_u32_e32 v0, vcc, v9, v0
	v_addc_co_u32_e32 v1, vcc, v6, v1, vcc
	global_load_dwordx2 v[6:7], v[0:1], off
	global_load_dwordx2 v[2:3], v[4:5], off
.LBB4_18:                               ; =>This Inner Loop Header: Depth=1
	s_waitcnt vmcnt(0)
	v_add_f64 v[0:1], v[2:3], v[6:7]
	global_atomic_cmpswap_x2 v[0:1], v[4:5], v[0:3], off glc
	s_waitcnt vmcnt(0)
	v_cmp_eq_u64_e32 vcc, v[0:1], v[2:3]
	v_mov_b32_e32 v3, v1
	s_or_b64 s[0:1], vcc, s[0:1]
	v_mov_b32_e32 v2, v0
	s_andn2_b64 exec, exec, s[0:1]
	s_cbranch_execnz .LBB4_18
.LBB4_19:
	s_endpgm
.LBB4_20:
	s_xor_b64 s[0:1], exec, -1
	s_or_b64 s[14:15], s[2:3], exec
	s_trap 2
	s_branch .LBB4_11
	.section	.rodata,"a",@progbits
	.p2align	6, 0x0
	.amdhsa_kernel _ZN2at6native12_GLOBAL__N_145fractional_max_pool2d_backward_out_cuda_frameIdEEvN5torch10headeronly6detail27GenericPackedTensorAccessorINS5_14TensorAccessorIN3c108ArrayRefIlEET_Lm3ENS4_16DefaultPtrTraitsElEENS_6detail16IndexBoundsCheckILm4ElEESB_Lm4ESC_lEENS6_INS7_ISA_KSB_Lm3ESC_lEESG_SI_Lm4ESC_lEENS6_INS7_ISA_KlLm3ESC_lEESG_SL_Lm4ESC_lEE
		.amdhsa_group_segment_fixed_size 0
		.amdhsa_private_segment_fixed_size 0
		.amdhsa_kernarg_size 472
		.amdhsa_user_sgpr_count 6
		.amdhsa_user_sgpr_private_segment_buffer 1
		.amdhsa_user_sgpr_dispatch_ptr 0
		.amdhsa_user_sgpr_queue_ptr 0
		.amdhsa_user_sgpr_kernarg_segment_ptr 1
		.amdhsa_user_sgpr_dispatch_id 0
		.amdhsa_user_sgpr_flat_scratch_init 0
		.amdhsa_user_sgpr_private_segment_size 0
		.amdhsa_uses_dynamic_stack 0
		.amdhsa_system_sgpr_private_segment_wavefront_offset 0
		.amdhsa_system_sgpr_workgroup_id_x 1
		.amdhsa_system_sgpr_workgroup_id_y 1
		.amdhsa_system_sgpr_workgroup_id_z 1
		.amdhsa_system_sgpr_workgroup_info 0
		.amdhsa_system_vgpr_workitem_id 0
		.amdhsa_next_free_vgpr 16
		.amdhsa_next_free_sgpr 25
		.amdhsa_reserve_vcc 1
		.amdhsa_reserve_flat_scratch 0
		.amdhsa_float_round_mode_32 0
		.amdhsa_float_round_mode_16_64 0
		.amdhsa_float_denorm_mode_32 3
		.amdhsa_float_denorm_mode_16_64 3
		.amdhsa_dx10_clamp 1
		.amdhsa_ieee_mode 1
		.amdhsa_fp16_overflow 0
		.amdhsa_exception_fp_ieee_invalid_op 0
		.amdhsa_exception_fp_denorm_src 0
		.amdhsa_exception_fp_ieee_div_zero 0
		.amdhsa_exception_fp_ieee_overflow 0
		.amdhsa_exception_fp_ieee_underflow 0
		.amdhsa_exception_fp_ieee_inexact 0
		.amdhsa_exception_int_div_zero 0
	.end_amdhsa_kernel
	.section	.text._ZN2at6native12_GLOBAL__N_145fractional_max_pool2d_backward_out_cuda_frameIdEEvN5torch10headeronly6detail27GenericPackedTensorAccessorINS5_14TensorAccessorIN3c108ArrayRefIlEET_Lm3ENS4_16DefaultPtrTraitsElEENS_6detail16IndexBoundsCheckILm4ElEESB_Lm4ESC_lEENS6_INS7_ISA_KSB_Lm3ESC_lEESG_SI_Lm4ESC_lEENS6_INS7_ISA_KlLm3ESC_lEESG_SL_Lm4ESC_lEE,"axG",@progbits,_ZN2at6native12_GLOBAL__N_145fractional_max_pool2d_backward_out_cuda_frameIdEEvN5torch10headeronly6detail27GenericPackedTensorAccessorINS5_14TensorAccessorIN3c108ArrayRefIlEET_Lm3ENS4_16DefaultPtrTraitsElEENS_6detail16IndexBoundsCheckILm4ElEESB_Lm4ESC_lEENS6_INS7_ISA_KSB_Lm3ESC_lEESG_SI_Lm4ESC_lEENS6_INS7_ISA_KlLm3ESC_lEESG_SL_Lm4ESC_lEE,comdat
.Lfunc_end4:
	.size	_ZN2at6native12_GLOBAL__N_145fractional_max_pool2d_backward_out_cuda_frameIdEEvN5torch10headeronly6detail27GenericPackedTensorAccessorINS5_14TensorAccessorIN3c108ArrayRefIlEET_Lm3ENS4_16DefaultPtrTraitsElEENS_6detail16IndexBoundsCheckILm4ElEESB_Lm4ESC_lEENS6_INS7_ISA_KSB_Lm3ESC_lEESG_SI_Lm4ESC_lEENS6_INS7_ISA_KlLm3ESC_lEESG_SL_Lm4ESC_lEE, .Lfunc_end4-_ZN2at6native12_GLOBAL__N_145fractional_max_pool2d_backward_out_cuda_frameIdEEvN5torch10headeronly6detail27GenericPackedTensorAccessorINS5_14TensorAccessorIN3c108ArrayRefIlEET_Lm3ENS4_16DefaultPtrTraitsElEENS_6detail16IndexBoundsCheckILm4ElEESB_Lm4ESC_lEENS6_INS7_ISA_KSB_Lm3ESC_lEESG_SI_Lm4ESC_lEENS6_INS7_ISA_KlLm3ESC_lEESG_SL_Lm4ESC_lEE
                                        ; -- End function
	.set _ZN2at6native12_GLOBAL__N_145fractional_max_pool2d_backward_out_cuda_frameIdEEvN5torch10headeronly6detail27GenericPackedTensorAccessorINS5_14TensorAccessorIN3c108ArrayRefIlEET_Lm3ENS4_16DefaultPtrTraitsElEENS_6detail16IndexBoundsCheckILm4ElEESB_Lm4ESC_lEENS6_INS7_ISA_KSB_Lm3ESC_lEESG_SI_Lm4ESC_lEENS6_INS7_ISA_KlLm3ESC_lEESG_SL_Lm4ESC_lEE.num_vgpr, 16
	.set _ZN2at6native12_GLOBAL__N_145fractional_max_pool2d_backward_out_cuda_frameIdEEvN5torch10headeronly6detail27GenericPackedTensorAccessorINS5_14TensorAccessorIN3c108ArrayRefIlEET_Lm3ENS4_16DefaultPtrTraitsElEENS_6detail16IndexBoundsCheckILm4ElEESB_Lm4ESC_lEENS6_INS7_ISA_KSB_Lm3ESC_lEESG_SI_Lm4ESC_lEENS6_INS7_ISA_KlLm3ESC_lEESG_SL_Lm4ESC_lEE.num_agpr, 0
	.set _ZN2at6native12_GLOBAL__N_145fractional_max_pool2d_backward_out_cuda_frameIdEEvN5torch10headeronly6detail27GenericPackedTensorAccessorINS5_14TensorAccessorIN3c108ArrayRefIlEET_Lm3ENS4_16DefaultPtrTraitsElEENS_6detail16IndexBoundsCheckILm4ElEESB_Lm4ESC_lEENS6_INS7_ISA_KSB_Lm3ESC_lEESG_SI_Lm4ESC_lEENS6_INS7_ISA_KlLm3ESC_lEESG_SL_Lm4ESC_lEE.numbered_sgpr, 25
	.set _ZN2at6native12_GLOBAL__N_145fractional_max_pool2d_backward_out_cuda_frameIdEEvN5torch10headeronly6detail27GenericPackedTensorAccessorINS5_14TensorAccessorIN3c108ArrayRefIlEET_Lm3ENS4_16DefaultPtrTraitsElEENS_6detail16IndexBoundsCheckILm4ElEESB_Lm4ESC_lEENS6_INS7_ISA_KSB_Lm3ESC_lEESG_SI_Lm4ESC_lEENS6_INS7_ISA_KlLm3ESC_lEESG_SL_Lm4ESC_lEE.num_named_barrier, 0
	.set _ZN2at6native12_GLOBAL__N_145fractional_max_pool2d_backward_out_cuda_frameIdEEvN5torch10headeronly6detail27GenericPackedTensorAccessorINS5_14TensorAccessorIN3c108ArrayRefIlEET_Lm3ENS4_16DefaultPtrTraitsElEENS_6detail16IndexBoundsCheckILm4ElEESB_Lm4ESC_lEENS6_INS7_ISA_KSB_Lm3ESC_lEESG_SI_Lm4ESC_lEENS6_INS7_ISA_KlLm3ESC_lEESG_SL_Lm4ESC_lEE.private_seg_size, 0
	.set _ZN2at6native12_GLOBAL__N_145fractional_max_pool2d_backward_out_cuda_frameIdEEvN5torch10headeronly6detail27GenericPackedTensorAccessorINS5_14TensorAccessorIN3c108ArrayRefIlEET_Lm3ENS4_16DefaultPtrTraitsElEENS_6detail16IndexBoundsCheckILm4ElEESB_Lm4ESC_lEENS6_INS7_ISA_KSB_Lm3ESC_lEESG_SI_Lm4ESC_lEENS6_INS7_ISA_KlLm3ESC_lEESG_SL_Lm4ESC_lEE.uses_vcc, 1
	.set _ZN2at6native12_GLOBAL__N_145fractional_max_pool2d_backward_out_cuda_frameIdEEvN5torch10headeronly6detail27GenericPackedTensorAccessorINS5_14TensorAccessorIN3c108ArrayRefIlEET_Lm3ENS4_16DefaultPtrTraitsElEENS_6detail16IndexBoundsCheckILm4ElEESB_Lm4ESC_lEENS6_INS7_ISA_KSB_Lm3ESC_lEESG_SI_Lm4ESC_lEENS6_INS7_ISA_KlLm3ESC_lEESG_SL_Lm4ESC_lEE.uses_flat_scratch, 0
	.set _ZN2at6native12_GLOBAL__N_145fractional_max_pool2d_backward_out_cuda_frameIdEEvN5torch10headeronly6detail27GenericPackedTensorAccessorINS5_14TensorAccessorIN3c108ArrayRefIlEET_Lm3ENS4_16DefaultPtrTraitsElEENS_6detail16IndexBoundsCheckILm4ElEESB_Lm4ESC_lEENS6_INS7_ISA_KSB_Lm3ESC_lEESG_SI_Lm4ESC_lEENS6_INS7_ISA_KlLm3ESC_lEESG_SL_Lm4ESC_lEE.has_dyn_sized_stack, 0
	.set _ZN2at6native12_GLOBAL__N_145fractional_max_pool2d_backward_out_cuda_frameIdEEvN5torch10headeronly6detail27GenericPackedTensorAccessorINS5_14TensorAccessorIN3c108ArrayRefIlEET_Lm3ENS4_16DefaultPtrTraitsElEENS_6detail16IndexBoundsCheckILm4ElEESB_Lm4ESC_lEENS6_INS7_ISA_KSB_Lm3ESC_lEESG_SI_Lm4ESC_lEENS6_INS7_ISA_KlLm3ESC_lEESG_SL_Lm4ESC_lEE.has_recursion, 0
	.set _ZN2at6native12_GLOBAL__N_145fractional_max_pool2d_backward_out_cuda_frameIdEEvN5torch10headeronly6detail27GenericPackedTensorAccessorINS5_14TensorAccessorIN3c108ArrayRefIlEET_Lm3ENS4_16DefaultPtrTraitsElEENS_6detail16IndexBoundsCheckILm4ElEESB_Lm4ESC_lEENS6_INS7_ISA_KSB_Lm3ESC_lEESG_SI_Lm4ESC_lEENS6_INS7_ISA_KlLm3ESC_lEESG_SL_Lm4ESC_lEE.has_indirect_call, 0
	.section	.AMDGPU.csdata,"",@progbits
; Kernel info:
; codeLenInByte = 2520
; TotalNumSgprs: 29
; NumVgprs: 16
; ScratchSize: 0
; MemoryBound: 0
; FloatMode: 240
; IeeeMode: 1
; LDSByteSize: 0 bytes/workgroup (compile time only)
; SGPRBlocks: 3
; VGPRBlocks: 3
; NumSGPRsForWavesPerEU: 29
; NumVGPRsForWavesPerEU: 16
; Occupancy: 10
; WaveLimiterHint : 1
; COMPUTE_PGM_RSRC2:SCRATCH_EN: 0
; COMPUTE_PGM_RSRC2:USER_SGPR: 6
; COMPUTE_PGM_RSRC2:TRAP_HANDLER: 0
; COMPUTE_PGM_RSRC2:TGID_X_EN: 1
; COMPUTE_PGM_RSRC2:TGID_Y_EN: 1
; COMPUTE_PGM_RSRC2:TGID_Z_EN: 1
; COMPUTE_PGM_RSRC2:TIDIG_COMP_CNT: 0
	.section	.text._ZN2at6native12_GLOBAL__N_145fractional_max_pool2d_backward_out_cuda_frameIfEEvN5torch10headeronly6detail27GenericPackedTensorAccessorINS5_14TensorAccessorIN3c108ArrayRefIlEET_Lm3ENS4_16DefaultPtrTraitsElEENS_6detail16IndexBoundsCheckILm4ElEESB_Lm4ESC_lEENS6_INS7_ISA_KSB_Lm3ESC_lEESG_SI_Lm4ESC_lEENS6_INS7_ISA_KlLm3ESC_lEESG_SL_Lm4ESC_lEE,"axG",@progbits,_ZN2at6native12_GLOBAL__N_145fractional_max_pool2d_backward_out_cuda_frameIfEEvN5torch10headeronly6detail27GenericPackedTensorAccessorINS5_14TensorAccessorIN3c108ArrayRefIlEET_Lm3ENS4_16DefaultPtrTraitsElEENS_6detail16IndexBoundsCheckILm4ElEESB_Lm4ESC_lEENS6_INS7_ISA_KSB_Lm3ESC_lEESG_SI_Lm4ESC_lEENS6_INS7_ISA_KlLm3ESC_lEESG_SL_Lm4ESC_lEE,comdat
	.globl	_ZN2at6native12_GLOBAL__N_145fractional_max_pool2d_backward_out_cuda_frameIfEEvN5torch10headeronly6detail27GenericPackedTensorAccessorINS5_14TensorAccessorIN3c108ArrayRefIlEET_Lm3ENS4_16DefaultPtrTraitsElEENS_6detail16IndexBoundsCheckILm4ElEESB_Lm4ESC_lEENS6_INS7_ISA_KSB_Lm3ESC_lEESG_SI_Lm4ESC_lEENS6_INS7_ISA_KlLm3ESC_lEESG_SL_Lm4ESC_lEE ; -- Begin function _ZN2at6native12_GLOBAL__N_145fractional_max_pool2d_backward_out_cuda_frameIfEEvN5torch10headeronly6detail27GenericPackedTensorAccessorINS5_14TensorAccessorIN3c108ArrayRefIlEET_Lm3ENS4_16DefaultPtrTraitsElEENS_6detail16IndexBoundsCheckILm4ElEESB_Lm4ESC_lEENS6_INS7_ISA_KSB_Lm3ESC_lEESG_SI_Lm4ESC_lEENS6_INS7_ISA_KlLm3ESC_lEESG_SL_Lm4ESC_lEE
	.p2align	8
	.type	_ZN2at6native12_GLOBAL__N_145fractional_max_pool2d_backward_out_cuda_frameIfEEvN5torch10headeronly6detail27GenericPackedTensorAccessorINS5_14TensorAccessorIN3c108ArrayRefIlEET_Lm3ENS4_16DefaultPtrTraitsElEENS_6detail16IndexBoundsCheckILm4ElEESB_Lm4ESC_lEENS6_INS7_ISA_KSB_Lm3ESC_lEESG_SI_Lm4ESC_lEENS6_INS7_ISA_KlLm3ESC_lEESG_SL_Lm4ESC_lEE,@function
_ZN2at6native12_GLOBAL__N_145fractional_max_pool2d_backward_out_cuda_frameIfEEvN5torch10headeronly6detail27GenericPackedTensorAccessorINS5_14TensorAccessorIN3c108ArrayRefIlEET_Lm3ENS4_16DefaultPtrTraitsElEENS_6detail16IndexBoundsCheckILm4ElEESB_Lm4ESC_lEENS6_INS7_ISA_KSB_Lm3ESC_lEESG_SI_Lm4ESC_lEENS6_INS7_ISA_KlLm3ESC_lEESG_SL_Lm4ESC_lEE: ; @_ZN2at6native12_GLOBAL__N_145fractional_max_pool2d_backward_out_cuda_frameIfEEvN5torch10headeronly6detail27GenericPackedTensorAccessorINS5_14TensorAccessorIN3c108ArrayRefIlEET_Lm3ENS4_16DefaultPtrTraitsElEENS_6detail16IndexBoundsCheckILm4ElEESB_Lm4ESC_lEENS6_INS7_ISA_KSB_Lm3ESC_lEESG_SI_Lm4ESC_lEENS6_INS7_ISA_KlLm3ESC_lEESG_SL_Lm4ESC_lEE
; %bb.0:
	s_load_dword s9, s[4:5], 0xe4
	s_load_dwordx4 s[0:3], s[4:5], 0x60
	s_waitcnt lgkmcnt(0)
	s_and_b32 s9, s9, 0xffff
	s_mul_i32 s6, s6, s9
	v_add_u32_e32 v2, s6, v0
	s_mul_i32 s1, s2, s1
	s_mul_hi_u32 s6, s2, s0
	s_add_i32 s1, s6, s1
	s_mul_i32 s6, s3, s0
	v_ashrrev_i32_e32 v3, 31, v2
	s_add_i32 s1, s1, s6
	s_mul_i32 s0, s2, s0
	v_cmp_gt_i64_e32 vcc, s[0:1], v[2:3]
	s_and_saveexec_b64 s[0:1], vcc
	s_cbranch_execz .LBB5_19
; %bb.1:
	v_or_b32_e32 v1, s3, v3
	v_mov_b32_e32 v0, 0
	v_cmp_ne_u64_e32 vcc, 0, v[0:1]
                                        ; implicit-def: $vgpr0_vgpr1
	s_and_saveexec_b64 s[0:1], vcc
	s_xor_b64 s[10:11], exec, s[0:1]
	s_cbranch_execz .LBB5_3
; %bb.2:
	s_ashr_i32 s12, s3, 31
	s_add_u32 s0, s2, s12
	s_mov_b32 s13, s12
	s_addc_u32 s1, s3, s12
	s_xor_b64 s[14:15], s[0:1], s[12:13]
	v_cvt_f32_u32_e32 v0, s14
	v_cvt_f32_u32_e32 v1, s15
	s_sub_u32 s6, 0, s14
	s_subb_u32 s9, 0, s15
	v_ashrrev_i32_e32 v6, 31, v3
	v_madmk_f32 v0, v1, 0x4f800000, v0
	v_rcp_f32_e32 v0, v0
	v_mul_f32_e32 v0, 0x5f7ffffc, v0
	v_mul_f32_e32 v1, 0x2f800000, v0
	v_trunc_f32_e32 v1, v1
	v_madmk_f32 v0, v1, 0xcf800000, v0
	v_cvt_u32_f32_e32 v1, v1
	v_cvt_u32_f32_e32 v0, v0
	v_readfirstlane_b32 s13, v1
	v_readfirstlane_b32 s0, v0
	s_mul_i32 s1, s6, s13
	s_mul_hi_u32 s17, s6, s0
	s_mul_i32 s16, s9, s0
	s_add_i32 s1, s17, s1
	s_add_i32 s1, s1, s16
	s_mul_i32 s18, s6, s0
	s_mul_i32 s17, s0, s1
	s_mul_hi_u32 s19, s0, s18
	s_mul_hi_u32 s16, s0, s1
	s_add_u32 s17, s19, s17
	s_addc_u32 s16, 0, s16
	s_mul_hi_u32 s20, s13, s18
	s_mul_i32 s18, s13, s18
	s_add_u32 s17, s17, s18
	s_mul_hi_u32 s19, s13, s1
	s_addc_u32 s16, s16, s20
	s_addc_u32 s17, s19, 0
	s_mul_i32 s1, s13, s1
	s_add_u32 s1, s16, s1
	s_addc_u32 s16, 0, s17
	s_add_u32 s17, s0, s1
	s_cselect_b64 s[0:1], -1, 0
	s_cmp_lg_u64 s[0:1], 0
	s_addc_u32 s13, s13, s16
	s_mul_i32 s0, s6, s13
	s_mul_hi_u32 s1, s6, s17
	s_add_i32 s0, s1, s0
	s_mul_i32 s9, s9, s17
	s_add_i32 s0, s0, s9
	s_mul_i32 s6, s6, s17
	s_mul_hi_u32 s9, s13, s6
	s_mul_i32 s16, s13, s6
	s_mul_i32 s19, s17, s0
	s_mul_hi_u32 s6, s17, s6
	s_mul_hi_u32 s18, s17, s0
	s_add_u32 s6, s6, s19
	s_addc_u32 s18, 0, s18
	s_add_u32 s6, s6, s16
	s_mul_hi_u32 s1, s13, s0
	s_addc_u32 s6, s18, s9
	s_addc_u32 s1, s1, 0
	s_mul_i32 s0, s13, s0
	s_add_u32 s0, s6, s0
	s_addc_u32 s6, 0, s1
	s_add_u32 s9, s17, s0
	s_cselect_b64 s[0:1], -1, 0
	s_cmp_lg_u64 s[0:1], 0
	v_add_co_u32_e32 v0, vcc, v2, v6
	s_addc_u32 s6, s13, s6
	v_xor_b32_e32 v7, v0, v6
	v_mad_u64_u32 v[0:1], s[0:1], v7, s6, 0
	v_mul_hi_u32 v5, v7, s9
	v_addc_co_u32_e32 v4, vcc, v3, v6, vcc
	v_xor_b32_e32 v8, v4, v6
	v_add_co_u32_e32 v9, vcc, v5, v0
	v_addc_co_u32_e32 v10, vcc, 0, v1, vcc
	v_mad_u64_u32 v[0:1], s[0:1], v8, s9, 0
	v_mad_u64_u32 v[4:5], s[0:1], v8, s6, 0
	v_add_co_u32_e32 v0, vcc, v9, v0
	v_addc_co_u32_e32 v0, vcc, v10, v1, vcc
	v_addc_co_u32_e32 v1, vcc, 0, v5, vcc
	v_add_co_u32_e32 v4, vcc, v0, v4
	v_addc_co_u32_e32 v5, vcc, 0, v1, vcc
	v_mul_lo_u32 v9, s15, v4
	v_mul_lo_u32 v10, s14, v5
	v_mad_u64_u32 v[0:1], s[0:1], s14, v4, 0
	v_add3_u32 v1, v1, v10, v9
	v_sub_u32_e32 v9, v8, v1
	v_mov_b32_e32 v10, s15
	v_sub_co_u32_e32 v0, vcc, v7, v0
	v_subb_co_u32_e64 v7, s[0:1], v9, v10, vcc
	v_subrev_co_u32_e64 v9, s[0:1], s14, v0
	v_subbrev_co_u32_e64 v7, s[0:1], 0, v7, s[0:1]
	v_cmp_le_u32_e64 s[0:1], s15, v7
	v_cndmask_b32_e64 v10, 0, -1, s[0:1]
	v_cmp_le_u32_e64 s[0:1], s14, v9
	v_cndmask_b32_e64 v9, 0, -1, s[0:1]
	v_cmp_eq_u32_e64 s[0:1], s15, v7
	v_cndmask_b32_e64 v7, v10, v9, s[0:1]
	v_add_co_u32_e64 v9, s[0:1], 2, v4
	v_subb_co_u32_e32 v1, vcc, v8, v1, vcc
	v_addc_co_u32_e64 v10, s[0:1], 0, v5, s[0:1]
	v_cmp_le_u32_e32 vcc, s15, v1
	v_add_co_u32_e64 v11, s[0:1], 1, v4
	v_cndmask_b32_e64 v8, 0, -1, vcc
	v_cmp_le_u32_e32 vcc, s14, v0
	v_addc_co_u32_e64 v12, s[0:1], 0, v5, s[0:1]
	v_cndmask_b32_e64 v0, 0, -1, vcc
	v_cmp_eq_u32_e32 vcc, s15, v1
	v_cmp_ne_u32_e64 s[0:1], 0, v7
	v_cndmask_b32_e32 v0, v8, v0, vcc
	v_cndmask_b32_e64 v7, v12, v10, s[0:1]
	v_cmp_ne_u32_e32 vcc, 0, v0
	v_cndmask_b32_e64 v1, v11, v9, s[0:1]
	v_cndmask_b32_e32 v0, v5, v7, vcc
	v_cndmask_b32_e32 v1, v4, v1, vcc
	v_xor_b32_e32 v4, s12, v6
	v_xor_b32_e32 v5, v0, v4
	;; [unrolled: 1-line block ×3, first 2 shown]
	v_sub_co_u32_e32 v0, vcc, v0, v4
	v_subb_co_u32_e32 v1, vcc, v5, v4, vcc
.LBB5_3:
	s_andn2_saveexec_b64 s[0:1], s[10:11]
	s_cbranch_execz .LBB5_5
; %bb.4:
	v_cvt_f32_u32_e32 v0, s2
	s_sub_i32 s6, 0, s2
	v_rcp_iflag_f32_e32 v0, v0
	v_mul_f32_e32 v0, 0x4f7ffffe, v0
	v_cvt_u32_f32_e32 v0, v0
	v_mul_lo_u32 v1, s6, v0
	v_mul_hi_u32 v1, v0, v1
	v_add_u32_e32 v0, v0, v1
	v_mul_hi_u32 v0, v2, v0
	v_mul_lo_u32 v1, v0, s2
	v_add_u32_e32 v4, 1, v0
	v_sub_u32_e32 v1, v2, v1
	v_subrev_u32_e32 v5, s2, v1
	v_cmp_le_u32_e32 vcc, s2, v1
	v_cndmask_b32_e32 v1, v1, v5, vcc
	v_cndmask_b32_e32 v0, v0, v4, vcc
	v_add_u32_e32 v4, 1, v0
	v_cmp_le_u32_e32 vcc, s2, v1
	v_cndmask_b32_e32 v0, v0, v4, vcc
	v_mov_b32_e32 v1, 0
.LBB5_5:
	s_or_b64 exec, exec, s[0:1]
	s_load_dwordx8 s[12:19], s[4:5], 0xb8
	v_mad_u64_u32 v[4:5], s[0:1], v0, s2, 0
	s_ashr_i32 s6, s8, 31
	s_load_dwordx2 s[0:1], s[4:5], 0x90
	v_mul_lo_u32 v1, v1, s2
	v_mul_lo_u32 v6, v0, s3
	s_waitcnt lgkmcnt(0)
	s_mul_hi_u32 s2, s12, s8
	s_mul_i32 s3, s12, s6
	s_add_i32 s2, s2, s3
	s_mul_i32 s3, s13, s8
	s_add_i32 s3, s2, s3
	s_mul_i32 s2, s12, s8
	s_lshl_b64 s[2:3], s[2:3], 3
	s_add_u32 s10, s0, s2
	s_addc_u32 s11, s1, s3
	s_ashr_i32 s9, s7, 31
	s_mul_hi_u32 s0, s14, s7
	s_mul_i32 s1, s14, s9
	v_add3_u32 v1, v5, v6, v1
	v_sub_co_u32_e32 v9, vcc, v2, v4
	s_add_i32 s0, s0, s1
	s_mul_i32 s1, s15, s7
	v_ashrrev_i32_e32 v11, 31, v0
	v_subb_co_u32_e32 v10, vcc, v3, v1, vcc
	s_add_i32 s1, s0, s1
	s_mul_i32 s0, s14, s7
	v_mul_lo_u32 v3, s17, v0
	v_mul_lo_u32 v4, s16, v11
	v_mad_u64_u32 v[1:2], s[2:3], s16, v0, 0
	s_lshl_b64 s[0:1], s[0:1], 3
	s_add_u32 s2, s10, s0
	s_addc_u32 s0, s11, s1
	v_add3_u32 v2, v2, v4, v3
	v_mov_b32_e32 v5, s0
	v_mul_lo_u32 v6, s19, v9
	v_mul_lo_u32 v7, s18, v10
	v_mad_u64_u32 v[3:4], s[0:1], s18, v9, 0
	v_lshlrev_b64 v[1:2], 3, v[1:2]
	s_mov_b64 s[0:1], 0
	v_add_co_u32_e32 v8, vcc, s2, v1
	v_add3_u32 v4, v4, v7, v6
	v_addc_co_u32_e32 v5, vcc, v5, v2, vcc
	v_lshlrev_b64 v[1:2], 3, v[3:4]
	s_mov_b64 s[2:3], 0
	v_add_co_u32_e32 v1, vcc, v8, v1
	v_addc_co_u32_e32 v2, vcc, v5, v2, vcc
	global_load_dwordx2 v[7:8], v[1:2], off
	s_waitcnt vmcnt(0)
	v_and_b32_e32 v1, 0x80000000, v7
	v_cmp_ne_u32_e32 vcc, 0, v1
	s_and_saveexec_b64 s[10:11], vcc
	s_xor_b64 s[10:11], exec, s[10:11]
	s_cbranch_execnz .LBB5_14
; %bb.6:
	s_or_saveexec_b64 s[10:11], s[10:11]
                                        ; implicit-def: $vgpr3_vgpr4
                                        ; implicit-def: $vgpr5_vgpr6
                                        ; implicit-def: $vgpr1_vgpr2
	s_xor_b64 exec, exec, s[10:11]
	s_cbranch_execz .LBB5_15
.LBB5_7:
	s_load_dwordx2 s[12:13], s[4:5], 0x20
	s_mov_b32 s0, 0
	v_and_b32_e32 v1, 0x7fffffff, v7
	v_mov_b32_e32 v2, 0
	s_waitcnt lgkmcnt(0)
	s_mov_b32 s1, s13
	s_cmp_lg_u64 s[0:1], 0
	s_cbranch_scc0 .LBB5_13
; %bb.8:
	s_ashr_i32 s14, s13, 31
	s_add_u32 s0, s12, s14
	s_mov_b32 s15, s14
	s_addc_u32 s1, s13, s14
	s_xor_b64 s[16:17], s[0:1], s[14:15]
	v_cvt_f32_u32_e32 v3, s16
	v_cvt_f32_u32_e32 v4, s17
	s_sub_u32 s15, 0, s16
	s_subb_u32 s18, 0, s17
	v_add_co_u32_e32 v7, vcc, 0, v1
	v_madmk_f32 v3, v4, 0x4f800000, v3
	v_rcp_f32_e32 v3, v3
	v_mul_f32_e32 v3, 0x5f7ffffc, v3
	v_mul_f32_e32 v4, 0x2f800000, v3
	v_trunc_f32_e32 v4, v4
	v_madmk_f32 v3, v4, 0xcf800000, v3
	v_cvt_u32_f32_e32 v4, v4
	v_cvt_u32_f32_e32 v3, v3
	v_readfirstlane_b32 s19, v4
	v_readfirstlane_b32 s0, v3
	s_mul_i32 s1, s15, s19
	s_mul_hi_u32 s21, s15, s0
	s_mul_i32 s20, s18, s0
	s_add_i32 s1, s21, s1
	s_add_i32 s1, s1, s20
	s_mul_i32 s22, s15, s0
	s_mul_i32 s21, s0, s1
	s_mul_hi_u32 s23, s0, s22
	s_mul_hi_u32 s20, s0, s1
	s_add_u32 s21, s23, s21
	s_addc_u32 s20, 0, s20
	s_mul_hi_u32 s24, s19, s22
	s_mul_i32 s22, s19, s22
	s_add_u32 s21, s21, s22
	s_mul_hi_u32 s23, s19, s1
	s_addc_u32 s20, s20, s24
	s_addc_u32 s21, s23, 0
	s_mul_i32 s1, s19, s1
	s_add_u32 s1, s20, s1
	s_addc_u32 s20, 0, s21
	s_add_u32 s21, s0, s1
	s_cselect_b64 s[0:1], -1, 0
	s_cmp_lg_u64 s[0:1], 0
	s_addc_u32 s19, s19, s20
	s_mul_i32 s0, s15, s19
	s_mul_hi_u32 s1, s15, s21
	s_add_i32 s0, s1, s0
	s_mul_i32 s18, s18, s21
	s_add_i32 s0, s0, s18
	s_mul_i32 s15, s15, s21
	s_mul_hi_u32 s18, s19, s15
	s_mul_i32 s20, s19, s15
	s_mul_i32 s23, s21, s0
	s_mul_hi_u32 s15, s21, s15
	s_mul_hi_u32 s22, s21, s0
	s_add_u32 s15, s15, s23
	s_addc_u32 s22, 0, s22
	s_add_u32 s15, s15, s20
	s_mul_hi_u32 s1, s19, s0
	s_addc_u32 s15, s22, s18
	s_addc_u32 s1, s1, 0
	s_mul_i32 s0, s19, s0
	s_add_u32 s0, s15, s0
	s_addc_u32 s15, 0, s1
	s_add_u32 s18, s21, s0
	s_cselect_b64 s[0:1], -1, 0
	s_cmp_lg_u64 s[0:1], 0
	s_addc_u32 s15, s19, s15
	v_mad_u64_u32 v[3:4], s[0:1], v7, s15, 0
	v_mul_hi_u32 v5, v7, s18
	v_addc_co_u32_e64 v8, s[0:1], 0, 0, vcc
	v_add_co_u32_e32 v12, vcc, v5, v3
	v_addc_co_u32_e32 v13, vcc, 0, v4, vcc
	v_mad_u64_u32 v[3:4], s[0:1], v8, s18, 0
	v_mad_u64_u32 v[5:6], s[0:1], v8, s15, 0
	v_add_co_u32_e32 v3, vcc, v12, v3
	v_addc_co_u32_e32 v3, vcc, v13, v4, vcc
	v_addc_co_u32_e32 v4, vcc, 0, v6, vcc
	v_add_co_u32_e32 v5, vcc, v3, v5
	v_addc_co_u32_e32 v6, vcc, 0, v4, vcc
	v_mul_lo_u32 v12, s17, v5
	v_mul_lo_u32 v13, s16, v6
	v_mad_u64_u32 v[3:4], s[0:1], s16, v5, 0
	v_add3_u32 v4, v4, v13, v12
	v_sub_u32_e32 v12, v8, v4
	v_mov_b32_e32 v13, s17
	v_sub_co_u32_e32 v3, vcc, v7, v3
	v_subb_co_u32_e64 v7, s[0:1], v12, v13, vcc
	v_subrev_co_u32_e64 v12, s[0:1], s16, v3
	v_subbrev_co_u32_e64 v7, s[0:1], 0, v7, s[0:1]
	v_cmp_le_u32_e64 s[0:1], s17, v7
	v_cndmask_b32_e64 v13, 0, -1, s[0:1]
	v_cmp_le_u32_e64 s[0:1], s16, v12
	v_cndmask_b32_e64 v12, 0, -1, s[0:1]
	v_cmp_eq_u32_e64 s[0:1], s17, v7
	v_cndmask_b32_e64 v7, v13, v12, s[0:1]
	v_add_co_u32_e64 v12, s[0:1], 2, v5
	v_subb_co_u32_e32 v4, vcc, v8, v4, vcc
	v_addc_co_u32_e64 v13, s[0:1], 0, v6, s[0:1]
	v_cmp_le_u32_e32 vcc, s17, v4
	v_add_co_u32_e64 v14, s[0:1], 1, v5
	v_cndmask_b32_e64 v8, 0, -1, vcc
	v_cmp_le_u32_e32 vcc, s16, v3
	v_addc_co_u32_e64 v15, s[0:1], 0, v6, s[0:1]
	v_cndmask_b32_e64 v3, 0, -1, vcc
	v_cmp_eq_u32_e32 vcc, s17, v4
	v_cmp_ne_u32_e64 s[0:1], 0, v7
	v_cndmask_b32_e32 v3, v8, v3, vcc
	v_cndmask_b32_e64 v7, v15, v13, s[0:1]
	v_cmp_ne_u32_e32 vcc, 0, v3
	v_cndmask_b32_e64 v4, v14, v12, s[0:1]
	v_cndmask_b32_e32 v3, v6, v7, vcc
	v_cndmask_b32_e32 v4, v5, v4, vcc
	v_xor_b32_e32 v5, s14, v3
	v_xor_b32_e32 v3, s14, v4
	v_mov_b32_e32 v4, s14
	v_subrev_co_u32_e32 v3, vcc, s14, v3
	v_subb_co_u32_e32 v4, vcc, v5, v4, vcc
	s_cbranch_execnz .LBB5_10
.LBB5_9:
	v_cvt_f32_u32_e32 v3, s12
	s_sub_i32 s0, 0, s12
	v_rcp_iflag_f32_e32 v3, v3
	v_mul_f32_e32 v3, 0x4f7ffffe, v3
	v_cvt_u32_f32_e32 v3, v3
	v_mul_lo_u32 v4, s0, v3
	v_mul_hi_u32 v4, v3, v4
	v_add_u32_e32 v3, v3, v4
	v_mul_hi_u32 v3, v1, v3
	v_mul_lo_u32 v4, v3, s12
	v_add_u32_e32 v5, 1, v3
	v_sub_u32_e32 v4, v1, v4
	v_subrev_u32_e32 v6, s12, v4
	v_cmp_le_u32_e32 vcc, s12, v4
	v_cndmask_b32_e32 v4, v4, v6, vcc
	v_cndmask_b32_e32 v3, v3, v5, vcc
	v_add_u32_e32 v5, 1, v3
	v_cmp_le_u32_e32 vcc, s12, v4
	v_cndmask_b32_e32 v3, v3, v5, vcc
	v_mov_b32_e32 v4, 0
.LBB5_10:
	s_load_dwordx2 s[0:1], s[4:5], 0x18
	s_mov_b64 s[14:15], s[2:3]
	s_waitcnt lgkmcnt(0)
	v_cmp_le_i64_e32 vcc, s[0:1], v[3:4]
	s_mov_b64 s[0:1], -1
	s_and_saveexec_b64 s[16:17], vcc
	s_cbranch_execnz .LBB5_20
.LBB5_11:
	s_or_b64 exec, exec, s[16:17]
	v_mov_b32_e32 v5, s12
	v_mov_b32_e32 v6, s13
	s_andn2_b64 s[2:3], s[2:3], exec
	s_and_b64 s[12:13], s[14:15], exec
	s_and_b64 s[0:1], s[0:1], exec
	s_or_b64 s[2:3], s[2:3], s[12:13]
	s_or_b64 exec, exec, s[10:11]
	s_and_saveexec_b64 s[10:11], s[2:3]
	s_cbranch_execnz .LBB5_16
.LBB5_12:
	s_or_b64 exec, exec, s[10:11]
	s_and_b64 exec, exec, s[0:1]
	s_cbranch_execnz .LBB5_17
	s_branch .LBB5_19
.LBB5_13:
                                        ; implicit-def: $vgpr3_vgpr4
	s_branch .LBB5_9
.LBB5_14:
	s_mov_b64 s[2:3], exec
	s_trap 2
                                        ; implicit-def: $vgpr7_vgpr8
	s_or_saveexec_b64 s[10:11], s[10:11]
                                        ; implicit-def: $vgpr3_vgpr4
                                        ; implicit-def: $vgpr5_vgpr6
                                        ; implicit-def: $vgpr1_vgpr2
	s_xor_b64 exec, exec, s[10:11]
	s_cbranch_execnz .LBB5_7
.LBB5_15:
	s_or_b64 exec, exec, s[10:11]
	s_and_saveexec_b64 s[10:11], s[2:3]
	s_cbranch_execz .LBB5_12
.LBB5_16:
	; divergent unreachable
	s_or_b64 exec, exec, s[10:11]
	s_and_b64 exec, exec, s[0:1]
	s_cbranch_execz .LBB5_19
.LBB5_17:
	s_load_dwordx8 s[12:19], s[4:5], 0x28
	v_mul_lo_u32 v7, v4, v5
	v_mul_lo_u32 v8, v3, v6
	v_mad_u64_u32 v[5:6], s[0:1], v3, v5, 0
	s_load_dwordx2 s[0:1], s[4:5], 0x0
	s_load_dwordx2 s[2:3], s[4:5], 0x48
	s_waitcnt lgkmcnt(0)
	s_mul_i32 s10, s12, s6
	s_mul_hi_u32 s11, s12, s8
	s_add_i32 s10, s11, s10
	s_mul_i32 s11, s13, s8
	s_add_i32 s11, s10, s11
	s_mul_i32 s10, s12, s8
	s_lshl_b64 s[10:11], s[10:11], 2
	s_add_u32 s12, s0, s10
	s_addc_u32 s13, s1, s11
	s_mul_i32 s0, s14, s9
	s_mul_hi_u32 s1, s14, s7
	v_add3_u32 v6, v6, v8, v7
	v_sub_co_u32_e32 v5, vcc, v1, v5
	s_add_i32 s0, s1, s0
	s_mul_i32 s1, s15, s7
	v_subb_co_u32_e32 v6, vcc, v2, v6, vcc
	s_add_i32 s1, s0, s1
	s_mul_i32 s0, s14, s7
	v_mul_lo_u32 v7, s17, v3
	v_mul_lo_u32 v4, s16, v4
	v_mad_u64_u32 v[1:2], s[10:11], s16, v3, 0
	s_lshl_b64 s[0:1], s[0:1], 2
	s_add_u32 s10, s12, s0
	s_addc_u32 s0, s13, s1
	v_add3_u32 v2, v2, v4, v7
	v_mov_b32_e32 v7, s0
	v_mul_lo_u32 v8, s19, v5
	v_mul_lo_u32 v6, s18, v6
	v_mad_u64_u32 v[3:4], s[0:1], s18, v5, 0
	s_load_dwordx8 s[12:19], s[4:5], 0x70
	v_lshlrev_b64 v[1:2], 2, v[1:2]
	v_add3_u32 v4, v4, v6, v8
	v_add_co_u32_e32 v5, vcc, s10, v1
	s_waitcnt lgkmcnt(0)
	s_mul_i32 s0, s12, s6
	s_mul_hi_u32 s1, s12, s8
	s_add_i32 s0, s1, s0
	s_mul_i32 s1, s13, s8
	s_add_i32 s1, s0, s1
	s_mul_i32 s0, s12, s8
	s_lshl_b64 s[0:1], s[0:1], 2
	s_add_u32 s4, s2, s0
	v_addc_co_u32_e32 v7, vcc, v7, v2, vcc
	v_lshlrev_b64 v[1:2], 2, v[3:4]
	s_addc_u32 s5, s3, s1
	s_mul_i32 s0, s14, s9
	s_mul_hi_u32 s1, s14, s7
	s_add_i32 s0, s1, s0
	s_mul_i32 s1, s15, s7
	v_add_co_u32_e32 v1, vcc, v5, v1
	s_add_i32 s1, s0, s1
	s_mul_i32 s0, s14, s7
	v_mul_lo_u32 v5, s17, v0
	v_mul_lo_u32 v6, s16, v11
	v_mad_u64_u32 v[3:4], s[2:3], s16, v0, 0
	s_lshl_b64 s[0:1], s[0:1], 2
	s_add_u32 s2, s4, s0
	s_addc_u32 s0, s5, s1
	v_addc_co_u32_e32 v2, vcc, v7, v2, vcc
	v_add3_u32 v4, v4, v6, v5
	v_mov_b32_e32 v0, s0
	v_mul_lo_u32 v7, s19, v9
	v_mul_lo_u32 v8, s18, v10
	v_mad_u64_u32 v[5:6], s[0:1], s18, v9, 0
	v_lshlrev_b64 v[3:4], 2, v[3:4]
	s_mov_b64 s[0:1], 0
	v_add_co_u32_e32 v9, vcc, s2, v3
	v_add3_u32 v6, v6, v8, v7
	v_addc_co_u32_e32 v0, vcc, v0, v4, vcc
	v_lshlrev_b64 v[3:4], 2, v[5:6]
	v_add_co_u32_e32 v5, vcc, v9, v3
	v_addc_co_u32_e32 v6, vcc, v0, v4, vcc
	global_load_dword v0, v[5:6], off
	global_load_dword v4, v[1:2], off
.LBB5_18:                               ; =>This Inner Loop Header: Depth=1
	s_waitcnt vmcnt(0)
	v_add_f32_e32 v3, v4, v0
	global_atomic_cmpswap v3, v[1:2], v[3:4], off glc
	s_waitcnt vmcnt(0)
	v_cmp_eq_u32_e32 vcc, v3, v4
	s_or_b64 s[0:1], vcc, s[0:1]
	v_mov_b32_e32 v4, v3
	s_andn2_b64 exec, exec, s[0:1]
	s_cbranch_execnz .LBB5_18
.LBB5_19:
	s_endpgm
.LBB5_20:
	s_xor_b64 s[0:1], exec, -1
	s_or_b64 s[14:15], s[2:3], exec
	s_trap 2
	s_branch .LBB5_11
	.section	.rodata,"a",@progbits
	.p2align	6, 0x0
	.amdhsa_kernel _ZN2at6native12_GLOBAL__N_145fractional_max_pool2d_backward_out_cuda_frameIfEEvN5torch10headeronly6detail27GenericPackedTensorAccessorINS5_14TensorAccessorIN3c108ArrayRefIlEET_Lm3ENS4_16DefaultPtrTraitsElEENS_6detail16IndexBoundsCheckILm4ElEESB_Lm4ESC_lEENS6_INS7_ISA_KSB_Lm3ESC_lEESG_SI_Lm4ESC_lEENS6_INS7_ISA_KlLm3ESC_lEESG_SL_Lm4ESC_lEE
		.amdhsa_group_segment_fixed_size 0
		.amdhsa_private_segment_fixed_size 0
		.amdhsa_kernarg_size 472
		.amdhsa_user_sgpr_count 6
		.amdhsa_user_sgpr_private_segment_buffer 1
		.amdhsa_user_sgpr_dispatch_ptr 0
		.amdhsa_user_sgpr_queue_ptr 0
		.amdhsa_user_sgpr_kernarg_segment_ptr 1
		.amdhsa_user_sgpr_dispatch_id 0
		.amdhsa_user_sgpr_flat_scratch_init 0
		.amdhsa_user_sgpr_private_segment_size 0
		.amdhsa_uses_dynamic_stack 0
		.amdhsa_system_sgpr_private_segment_wavefront_offset 0
		.amdhsa_system_sgpr_workgroup_id_x 1
		.amdhsa_system_sgpr_workgroup_id_y 1
		.amdhsa_system_sgpr_workgroup_id_z 1
		.amdhsa_system_sgpr_workgroup_info 0
		.amdhsa_system_vgpr_workitem_id 0
		.amdhsa_next_free_vgpr 16
		.amdhsa_next_free_sgpr 25
		.amdhsa_reserve_vcc 1
		.amdhsa_reserve_flat_scratch 0
		.amdhsa_float_round_mode_32 0
		.amdhsa_float_round_mode_16_64 0
		.amdhsa_float_denorm_mode_32 3
		.amdhsa_float_denorm_mode_16_64 3
		.amdhsa_dx10_clamp 1
		.amdhsa_ieee_mode 1
		.amdhsa_fp16_overflow 0
		.amdhsa_exception_fp_ieee_invalid_op 0
		.amdhsa_exception_fp_denorm_src 0
		.amdhsa_exception_fp_ieee_div_zero 0
		.amdhsa_exception_fp_ieee_overflow 0
		.amdhsa_exception_fp_ieee_underflow 0
		.amdhsa_exception_fp_ieee_inexact 0
		.amdhsa_exception_int_div_zero 0
	.end_amdhsa_kernel
	.section	.text._ZN2at6native12_GLOBAL__N_145fractional_max_pool2d_backward_out_cuda_frameIfEEvN5torch10headeronly6detail27GenericPackedTensorAccessorINS5_14TensorAccessorIN3c108ArrayRefIlEET_Lm3ENS4_16DefaultPtrTraitsElEENS_6detail16IndexBoundsCheckILm4ElEESB_Lm4ESC_lEENS6_INS7_ISA_KSB_Lm3ESC_lEESG_SI_Lm4ESC_lEENS6_INS7_ISA_KlLm3ESC_lEESG_SL_Lm4ESC_lEE,"axG",@progbits,_ZN2at6native12_GLOBAL__N_145fractional_max_pool2d_backward_out_cuda_frameIfEEvN5torch10headeronly6detail27GenericPackedTensorAccessorINS5_14TensorAccessorIN3c108ArrayRefIlEET_Lm3ENS4_16DefaultPtrTraitsElEENS_6detail16IndexBoundsCheckILm4ElEESB_Lm4ESC_lEENS6_INS7_ISA_KSB_Lm3ESC_lEESG_SI_Lm4ESC_lEENS6_INS7_ISA_KlLm3ESC_lEESG_SL_Lm4ESC_lEE,comdat
.Lfunc_end5:
	.size	_ZN2at6native12_GLOBAL__N_145fractional_max_pool2d_backward_out_cuda_frameIfEEvN5torch10headeronly6detail27GenericPackedTensorAccessorINS5_14TensorAccessorIN3c108ArrayRefIlEET_Lm3ENS4_16DefaultPtrTraitsElEENS_6detail16IndexBoundsCheckILm4ElEESB_Lm4ESC_lEENS6_INS7_ISA_KSB_Lm3ESC_lEESG_SI_Lm4ESC_lEENS6_INS7_ISA_KlLm3ESC_lEESG_SL_Lm4ESC_lEE, .Lfunc_end5-_ZN2at6native12_GLOBAL__N_145fractional_max_pool2d_backward_out_cuda_frameIfEEvN5torch10headeronly6detail27GenericPackedTensorAccessorINS5_14TensorAccessorIN3c108ArrayRefIlEET_Lm3ENS4_16DefaultPtrTraitsElEENS_6detail16IndexBoundsCheckILm4ElEESB_Lm4ESC_lEENS6_INS7_ISA_KSB_Lm3ESC_lEESG_SI_Lm4ESC_lEENS6_INS7_ISA_KlLm3ESC_lEESG_SL_Lm4ESC_lEE
                                        ; -- End function
	.set _ZN2at6native12_GLOBAL__N_145fractional_max_pool2d_backward_out_cuda_frameIfEEvN5torch10headeronly6detail27GenericPackedTensorAccessorINS5_14TensorAccessorIN3c108ArrayRefIlEET_Lm3ENS4_16DefaultPtrTraitsElEENS_6detail16IndexBoundsCheckILm4ElEESB_Lm4ESC_lEENS6_INS7_ISA_KSB_Lm3ESC_lEESG_SI_Lm4ESC_lEENS6_INS7_ISA_KlLm3ESC_lEESG_SL_Lm4ESC_lEE.num_vgpr, 16
	.set _ZN2at6native12_GLOBAL__N_145fractional_max_pool2d_backward_out_cuda_frameIfEEvN5torch10headeronly6detail27GenericPackedTensorAccessorINS5_14TensorAccessorIN3c108ArrayRefIlEET_Lm3ENS4_16DefaultPtrTraitsElEENS_6detail16IndexBoundsCheckILm4ElEESB_Lm4ESC_lEENS6_INS7_ISA_KSB_Lm3ESC_lEESG_SI_Lm4ESC_lEENS6_INS7_ISA_KlLm3ESC_lEESG_SL_Lm4ESC_lEE.num_agpr, 0
	.set _ZN2at6native12_GLOBAL__N_145fractional_max_pool2d_backward_out_cuda_frameIfEEvN5torch10headeronly6detail27GenericPackedTensorAccessorINS5_14TensorAccessorIN3c108ArrayRefIlEET_Lm3ENS4_16DefaultPtrTraitsElEENS_6detail16IndexBoundsCheckILm4ElEESB_Lm4ESC_lEENS6_INS7_ISA_KSB_Lm3ESC_lEESG_SI_Lm4ESC_lEENS6_INS7_ISA_KlLm3ESC_lEESG_SL_Lm4ESC_lEE.numbered_sgpr, 25
	.set _ZN2at6native12_GLOBAL__N_145fractional_max_pool2d_backward_out_cuda_frameIfEEvN5torch10headeronly6detail27GenericPackedTensorAccessorINS5_14TensorAccessorIN3c108ArrayRefIlEET_Lm3ENS4_16DefaultPtrTraitsElEENS_6detail16IndexBoundsCheckILm4ElEESB_Lm4ESC_lEENS6_INS7_ISA_KSB_Lm3ESC_lEESG_SI_Lm4ESC_lEENS6_INS7_ISA_KlLm3ESC_lEESG_SL_Lm4ESC_lEE.num_named_barrier, 0
	.set _ZN2at6native12_GLOBAL__N_145fractional_max_pool2d_backward_out_cuda_frameIfEEvN5torch10headeronly6detail27GenericPackedTensorAccessorINS5_14TensorAccessorIN3c108ArrayRefIlEET_Lm3ENS4_16DefaultPtrTraitsElEENS_6detail16IndexBoundsCheckILm4ElEESB_Lm4ESC_lEENS6_INS7_ISA_KSB_Lm3ESC_lEESG_SI_Lm4ESC_lEENS6_INS7_ISA_KlLm3ESC_lEESG_SL_Lm4ESC_lEE.private_seg_size, 0
	.set _ZN2at6native12_GLOBAL__N_145fractional_max_pool2d_backward_out_cuda_frameIfEEvN5torch10headeronly6detail27GenericPackedTensorAccessorINS5_14TensorAccessorIN3c108ArrayRefIlEET_Lm3ENS4_16DefaultPtrTraitsElEENS_6detail16IndexBoundsCheckILm4ElEESB_Lm4ESC_lEENS6_INS7_ISA_KSB_Lm3ESC_lEESG_SI_Lm4ESC_lEENS6_INS7_ISA_KlLm3ESC_lEESG_SL_Lm4ESC_lEE.uses_vcc, 1
	.set _ZN2at6native12_GLOBAL__N_145fractional_max_pool2d_backward_out_cuda_frameIfEEvN5torch10headeronly6detail27GenericPackedTensorAccessorINS5_14TensorAccessorIN3c108ArrayRefIlEET_Lm3ENS4_16DefaultPtrTraitsElEENS_6detail16IndexBoundsCheckILm4ElEESB_Lm4ESC_lEENS6_INS7_ISA_KSB_Lm3ESC_lEESG_SI_Lm4ESC_lEENS6_INS7_ISA_KlLm3ESC_lEESG_SL_Lm4ESC_lEE.uses_flat_scratch, 0
	.set _ZN2at6native12_GLOBAL__N_145fractional_max_pool2d_backward_out_cuda_frameIfEEvN5torch10headeronly6detail27GenericPackedTensorAccessorINS5_14TensorAccessorIN3c108ArrayRefIlEET_Lm3ENS4_16DefaultPtrTraitsElEENS_6detail16IndexBoundsCheckILm4ElEESB_Lm4ESC_lEENS6_INS7_ISA_KSB_Lm3ESC_lEESG_SI_Lm4ESC_lEENS6_INS7_ISA_KlLm3ESC_lEESG_SL_Lm4ESC_lEE.has_dyn_sized_stack, 0
	.set _ZN2at6native12_GLOBAL__N_145fractional_max_pool2d_backward_out_cuda_frameIfEEvN5torch10headeronly6detail27GenericPackedTensorAccessorINS5_14TensorAccessorIN3c108ArrayRefIlEET_Lm3ENS4_16DefaultPtrTraitsElEENS_6detail16IndexBoundsCheckILm4ElEESB_Lm4ESC_lEENS6_INS7_ISA_KSB_Lm3ESC_lEESG_SI_Lm4ESC_lEENS6_INS7_ISA_KlLm3ESC_lEESG_SL_Lm4ESC_lEE.has_recursion, 0
	.set _ZN2at6native12_GLOBAL__N_145fractional_max_pool2d_backward_out_cuda_frameIfEEvN5torch10headeronly6detail27GenericPackedTensorAccessorINS5_14TensorAccessorIN3c108ArrayRefIlEET_Lm3ENS4_16DefaultPtrTraitsElEENS_6detail16IndexBoundsCheckILm4ElEESB_Lm4ESC_lEENS6_INS7_ISA_KSB_Lm3ESC_lEESG_SI_Lm4ESC_lEENS6_INS7_ISA_KlLm3ESC_lEESG_SL_Lm4ESC_lEE.has_indirect_call, 0
	.section	.AMDGPU.csdata,"",@progbits
; Kernel info:
; codeLenInByte = 2512
; TotalNumSgprs: 29
; NumVgprs: 16
; ScratchSize: 0
; MemoryBound: 0
; FloatMode: 240
; IeeeMode: 1
; LDSByteSize: 0 bytes/workgroup (compile time only)
; SGPRBlocks: 3
; VGPRBlocks: 3
; NumSGPRsForWavesPerEU: 29
; NumVGPRsForWavesPerEU: 16
; Occupancy: 10
; WaveLimiterHint : 1
; COMPUTE_PGM_RSRC2:SCRATCH_EN: 0
; COMPUTE_PGM_RSRC2:USER_SGPR: 6
; COMPUTE_PGM_RSRC2:TRAP_HANDLER: 0
; COMPUTE_PGM_RSRC2:TGID_X_EN: 1
; COMPUTE_PGM_RSRC2:TGID_Y_EN: 1
; COMPUTE_PGM_RSRC2:TGID_Z_EN: 1
; COMPUTE_PGM_RSRC2:TIDIG_COMP_CNT: 0
	.section	.text._ZN2at6native12_GLOBAL__N_145fractional_max_pool2d_backward_out_cuda_frameIN3c104HalfEEEvN5torch10headeronly6detail27GenericPackedTensorAccessorINS7_14TensorAccessorINS3_8ArrayRefIlEET_Lm3ENS6_16DefaultPtrTraitsElEENS_6detail16IndexBoundsCheckILm4ElEESC_Lm4ESD_lEENS8_INS9_ISB_KSC_Lm3ESD_lEESH_SJ_Lm4ESD_lEENS8_INS9_ISB_KlLm3ESD_lEESH_SM_Lm4ESD_lEE,"axG",@progbits,_ZN2at6native12_GLOBAL__N_145fractional_max_pool2d_backward_out_cuda_frameIN3c104HalfEEEvN5torch10headeronly6detail27GenericPackedTensorAccessorINS7_14TensorAccessorINS3_8ArrayRefIlEET_Lm3ENS6_16DefaultPtrTraitsElEENS_6detail16IndexBoundsCheckILm4ElEESC_Lm4ESD_lEENS8_INS9_ISB_KSC_Lm3ESD_lEESH_SJ_Lm4ESD_lEENS8_INS9_ISB_KlLm3ESD_lEESH_SM_Lm4ESD_lEE,comdat
	.globl	_ZN2at6native12_GLOBAL__N_145fractional_max_pool2d_backward_out_cuda_frameIN3c104HalfEEEvN5torch10headeronly6detail27GenericPackedTensorAccessorINS7_14TensorAccessorINS3_8ArrayRefIlEET_Lm3ENS6_16DefaultPtrTraitsElEENS_6detail16IndexBoundsCheckILm4ElEESC_Lm4ESD_lEENS8_INS9_ISB_KSC_Lm3ESD_lEESH_SJ_Lm4ESD_lEENS8_INS9_ISB_KlLm3ESD_lEESH_SM_Lm4ESD_lEE ; -- Begin function _ZN2at6native12_GLOBAL__N_145fractional_max_pool2d_backward_out_cuda_frameIN3c104HalfEEEvN5torch10headeronly6detail27GenericPackedTensorAccessorINS7_14TensorAccessorINS3_8ArrayRefIlEET_Lm3ENS6_16DefaultPtrTraitsElEENS_6detail16IndexBoundsCheckILm4ElEESC_Lm4ESD_lEENS8_INS9_ISB_KSC_Lm3ESD_lEESH_SJ_Lm4ESD_lEENS8_INS9_ISB_KlLm3ESD_lEESH_SM_Lm4ESD_lEE
	.p2align	8
	.type	_ZN2at6native12_GLOBAL__N_145fractional_max_pool2d_backward_out_cuda_frameIN3c104HalfEEEvN5torch10headeronly6detail27GenericPackedTensorAccessorINS7_14TensorAccessorINS3_8ArrayRefIlEET_Lm3ENS6_16DefaultPtrTraitsElEENS_6detail16IndexBoundsCheckILm4ElEESC_Lm4ESD_lEENS8_INS9_ISB_KSC_Lm3ESD_lEESH_SJ_Lm4ESD_lEENS8_INS9_ISB_KlLm3ESD_lEESH_SM_Lm4ESD_lEE,@function
_ZN2at6native12_GLOBAL__N_145fractional_max_pool2d_backward_out_cuda_frameIN3c104HalfEEEvN5torch10headeronly6detail27GenericPackedTensorAccessorINS7_14TensorAccessorINS3_8ArrayRefIlEET_Lm3ENS6_16DefaultPtrTraitsElEENS_6detail16IndexBoundsCheckILm4ElEESC_Lm4ESD_lEENS8_INS9_ISB_KSC_Lm3ESD_lEESH_SJ_Lm4ESD_lEENS8_INS9_ISB_KlLm3ESD_lEESH_SM_Lm4ESD_lEE: ; @_ZN2at6native12_GLOBAL__N_145fractional_max_pool2d_backward_out_cuda_frameIN3c104HalfEEEvN5torch10headeronly6detail27GenericPackedTensorAccessorINS7_14TensorAccessorINS3_8ArrayRefIlEET_Lm3ENS6_16DefaultPtrTraitsElEENS_6detail16IndexBoundsCheckILm4ElEESC_Lm4ESD_lEENS8_INS9_ISB_KSC_Lm3ESD_lEESH_SJ_Lm4ESD_lEENS8_INS9_ISB_KlLm3ESD_lEESH_SM_Lm4ESD_lEE
; %bb.0:
	s_load_dword s9, s[4:5], 0xe4
	s_load_dwordx4 s[0:3], s[4:5], 0x60
	s_waitcnt lgkmcnt(0)
	s_and_b32 s9, s9, 0xffff
	s_mul_i32 s6, s6, s9
	v_add_u32_e32 v2, s6, v0
	s_mul_i32 s1, s2, s1
	s_mul_hi_u32 s6, s2, s0
	s_add_i32 s1, s6, s1
	s_mul_i32 s6, s3, s0
	v_ashrrev_i32_e32 v3, 31, v2
	s_add_i32 s1, s1, s6
	s_mul_i32 s0, s2, s0
	v_cmp_gt_i64_e32 vcc, s[0:1], v[2:3]
	s_and_saveexec_b64 s[0:1], vcc
	s_cbranch_execz .LBB6_23
; %bb.1:
	v_or_b32_e32 v1, s3, v3
	v_mov_b32_e32 v0, 0
	v_cmp_ne_u64_e32 vcc, 0, v[0:1]
                                        ; implicit-def: $vgpr0_vgpr1
	s_and_saveexec_b64 s[0:1], vcc
	s_xor_b64 s[10:11], exec, s[0:1]
	s_cbranch_execz .LBB6_3
; %bb.2:
	s_ashr_i32 s12, s3, 31
	s_add_u32 s0, s2, s12
	s_mov_b32 s13, s12
	s_addc_u32 s1, s3, s12
	s_xor_b64 s[14:15], s[0:1], s[12:13]
	v_cvt_f32_u32_e32 v0, s14
	v_cvt_f32_u32_e32 v1, s15
	s_sub_u32 s6, 0, s14
	s_subb_u32 s9, 0, s15
	v_ashrrev_i32_e32 v6, 31, v3
	v_madmk_f32 v0, v1, 0x4f800000, v0
	v_rcp_f32_e32 v0, v0
	v_mul_f32_e32 v0, 0x5f7ffffc, v0
	v_mul_f32_e32 v1, 0x2f800000, v0
	v_trunc_f32_e32 v1, v1
	v_madmk_f32 v0, v1, 0xcf800000, v0
	v_cvt_u32_f32_e32 v1, v1
	v_cvt_u32_f32_e32 v0, v0
	v_readfirstlane_b32 s13, v1
	v_readfirstlane_b32 s0, v0
	s_mul_i32 s1, s6, s13
	s_mul_hi_u32 s17, s6, s0
	s_mul_i32 s16, s9, s0
	s_add_i32 s1, s17, s1
	s_add_i32 s1, s1, s16
	s_mul_i32 s18, s6, s0
	s_mul_i32 s17, s0, s1
	s_mul_hi_u32 s19, s0, s18
	s_mul_hi_u32 s16, s0, s1
	s_add_u32 s17, s19, s17
	s_addc_u32 s16, 0, s16
	s_mul_hi_u32 s20, s13, s18
	s_mul_i32 s18, s13, s18
	s_add_u32 s17, s17, s18
	s_mul_hi_u32 s19, s13, s1
	s_addc_u32 s16, s16, s20
	s_addc_u32 s17, s19, 0
	s_mul_i32 s1, s13, s1
	s_add_u32 s1, s16, s1
	s_addc_u32 s16, 0, s17
	s_add_u32 s17, s0, s1
	s_cselect_b64 s[0:1], -1, 0
	s_cmp_lg_u64 s[0:1], 0
	s_addc_u32 s13, s13, s16
	s_mul_i32 s0, s6, s13
	s_mul_hi_u32 s1, s6, s17
	s_add_i32 s0, s1, s0
	s_mul_i32 s9, s9, s17
	s_add_i32 s0, s0, s9
	s_mul_i32 s6, s6, s17
	s_mul_hi_u32 s9, s13, s6
	s_mul_i32 s16, s13, s6
	s_mul_i32 s19, s17, s0
	s_mul_hi_u32 s6, s17, s6
	s_mul_hi_u32 s18, s17, s0
	s_add_u32 s6, s6, s19
	s_addc_u32 s18, 0, s18
	s_add_u32 s6, s6, s16
	s_mul_hi_u32 s1, s13, s0
	s_addc_u32 s6, s18, s9
	s_addc_u32 s1, s1, 0
	s_mul_i32 s0, s13, s0
	s_add_u32 s0, s6, s0
	s_addc_u32 s6, 0, s1
	s_add_u32 s9, s17, s0
	s_cselect_b64 s[0:1], -1, 0
	s_cmp_lg_u64 s[0:1], 0
	v_add_co_u32_e32 v0, vcc, v2, v6
	s_addc_u32 s6, s13, s6
	v_xor_b32_e32 v7, v0, v6
	v_mad_u64_u32 v[0:1], s[0:1], v7, s6, 0
	v_mul_hi_u32 v5, v7, s9
	v_addc_co_u32_e32 v4, vcc, v3, v6, vcc
	v_xor_b32_e32 v8, v4, v6
	v_add_co_u32_e32 v9, vcc, v5, v0
	v_addc_co_u32_e32 v10, vcc, 0, v1, vcc
	v_mad_u64_u32 v[0:1], s[0:1], v8, s9, 0
	v_mad_u64_u32 v[4:5], s[0:1], v8, s6, 0
	v_add_co_u32_e32 v0, vcc, v9, v0
	v_addc_co_u32_e32 v0, vcc, v10, v1, vcc
	v_addc_co_u32_e32 v1, vcc, 0, v5, vcc
	v_add_co_u32_e32 v4, vcc, v0, v4
	v_addc_co_u32_e32 v5, vcc, 0, v1, vcc
	v_mul_lo_u32 v9, s15, v4
	v_mul_lo_u32 v10, s14, v5
	v_mad_u64_u32 v[0:1], s[0:1], s14, v4, 0
	v_add3_u32 v1, v1, v10, v9
	v_sub_u32_e32 v9, v8, v1
	v_mov_b32_e32 v10, s15
	v_sub_co_u32_e32 v0, vcc, v7, v0
	v_subb_co_u32_e64 v7, s[0:1], v9, v10, vcc
	v_subrev_co_u32_e64 v9, s[0:1], s14, v0
	v_subbrev_co_u32_e64 v7, s[0:1], 0, v7, s[0:1]
	v_cmp_le_u32_e64 s[0:1], s15, v7
	v_cndmask_b32_e64 v10, 0, -1, s[0:1]
	v_cmp_le_u32_e64 s[0:1], s14, v9
	v_cndmask_b32_e64 v9, 0, -1, s[0:1]
	v_cmp_eq_u32_e64 s[0:1], s15, v7
	v_cndmask_b32_e64 v7, v10, v9, s[0:1]
	v_add_co_u32_e64 v9, s[0:1], 2, v4
	v_subb_co_u32_e32 v1, vcc, v8, v1, vcc
	v_addc_co_u32_e64 v10, s[0:1], 0, v5, s[0:1]
	v_cmp_le_u32_e32 vcc, s15, v1
	v_add_co_u32_e64 v11, s[0:1], 1, v4
	v_cndmask_b32_e64 v8, 0, -1, vcc
	v_cmp_le_u32_e32 vcc, s14, v0
	v_addc_co_u32_e64 v12, s[0:1], 0, v5, s[0:1]
	v_cndmask_b32_e64 v0, 0, -1, vcc
	v_cmp_eq_u32_e32 vcc, s15, v1
	v_cmp_ne_u32_e64 s[0:1], 0, v7
	v_cndmask_b32_e32 v0, v8, v0, vcc
	v_cndmask_b32_e64 v7, v12, v10, s[0:1]
	v_cmp_ne_u32_e32 vcc, 0, v0
	v_cndmask_b32_e64 v1, v11, v9, s[0:1]
	v_cndmask_b32_e32 v0, v5, v7, vcc
	v_cndmask_b32_e32 v1, v4, v1, vcc
	v_xor_b32_e32 v4, s12, v6
	v_xor_b32_e32 v5, v0, v4
	;; [unrolled: 1-line block ×3, first 2 shown]
	v_sub_co_u32_e32 v0, vcc, v0, v4
	v_subb_co_u32_e32 v1, vcc, v5, v4, vcc
.LBB6_3:
	s_andn2_saveexec_b64 s[0:1], s[10:11]
	s_cbranch_execz .LBB6_5
; %bb.4:
	v_cvt_f32_u32_e32 v0, s2
	s_sub_i32 s6, 0, s2
	v_rcp_iflag_f32_e32 v0, v0
	v_mul_f32_e32 v0, 0x4f7ffffe, v0
	v_cvt_u32_f32_e32 v0, v0
	v_mul_lo_u32 v1, s6, v0
	v_mul_hi_u32 v1, v0, v1
	v_add_u32_e32 v0, v0, v1
	v_mul_hi_u32 v0, v2, v0
	v_mul_lo_u32 v1, v0, s2
	v_add_u32_e32 v4, 1, v0
	v_sub_u32_e32 v1, v2, v1
	v_subrev_u32_e32 v5, s2, v1
	v_cmp_le_u32_e32 vcc, s2, v1
	v_cndmask_b32_e32 v1, v1, v5, vcc
	v_cndmask_b32_e32 v0, v0, v4, vcc
	v_add_u32_e32 v4, 1, v0
	v_cmp_le_u32_e32 vcc, s2, v1
	v_cndmask_b32_e32 v0, v0, v4, vcc
	v_mov_b32_e32 v1, 0
.LBB6_5:
	s_or_b64 exec, exec, s[0:1]
	s_load_dwordx8 s[12:19], s[4:5], 0xb8
	v_mad_u64_u32 v[4:5], s[0:1], v0, s2, 0
	s_ashr_i32 s6, s8, 31
	s_load_dwordx2 s[0:1], s[4:5], 0x90
	v_mul_lo_u32 v1, v1, s2
	v_mul_lo_u32 v6, v0, s3
	s_waitcnt lgkmcnt(0)
	s_mul_hi_u32 s2, s12, s8
	s_mul_i32 s3, s12, s6
	s_add_i32 s2, s2, s3
	s_mul_i32 s3, s13, s8
	s_add_i32 s3, s2, s3
	s_mul_i32 s2, s12, s8
	s_lshl_b64 s[2:3], s[2:3], 3
	s_add_u32 s10, s0, s2
	s_addc_u32 s11, s1, s3
	s_ashr_i32 s9, s7, 31
	s_mul_hi_u32 s0, s14, s7
	s_mul_i32 s1, s14, s9
	v_add3_u32 v1, v5, v6, v1
	v_sub_co_u32_e32 v9, vcc, v2, v4
	s_add_i32 s0, s0, s1
	s_mul_i32 s1, s15, s7
	v_ashrrev_i32_e32 v11, 31, v0
	v_subb_co_u32_e32 v10, vcc, v3, v1, vcc
	s_add_i32 s1, s0, s1
	s_mul_i32 s0, s14, s7
	v_mul_lo_u32 v3, s17, v0
	v_mul_lo_u32 v4, s16, v11
	v_mad_u64_u32 v[1:2], s[2:3], s16, v0, 0
	s_lshl_b64 s[0:1], s[0:1], 3
	s_add_u32 s2, s10, s0
	s_addc_u32 s0, s11, s1
	v_add3_u32 v2, v2, v4, v3
	v_mov_b32_e32 v5, s0
	v_mul_lo_u32 v6, s19, v9
	v_mul_lo_u32 v7, s18, v10
	v_mad_u64_u32 v[3:4], s[0:1], s18, v9, 0
	v_lshlrev_b64 v[1:2], 3, v[1:2]
	s_mov_b64 s[0:1], 0
	v_add_co_u32_e32 v8, vcc, s2, v1
	v_add3_u32 v4, v4, v7, v6
	v_addc_co_u32_e32 v5, vcc, v5, v2, vcc
	v_lshlrev_b64 v[1:2], 3, v[3:4]
	s_mov_b64 s[2:3], 0
	v_add_co_u32_e32 v1, vcc, v8, v1
	v_addc_co_u32_e32 v2, vcc, v5, v2, vcc
	global_load_dwordx2 v[7:8], v[1:2], off
	s_waitcnt vmcnt(0)
	v_and_b32_e32 v1, 0x80000000, v7
	v_cmp_ne_u32_e32 vcc, 0, v1
	s_and_saveexec_b64 s[10:11], vcc
	s_xor_b64 s[10:11], exec, s[10:11]
	s_cbranch_execnz .LBB6_14
; %bb.6:
	s_or_saveexec_b64 s[10:11], s[10:11]
                                        ; implicit-def: $vgpr3_vgpr4
                                        ; implicit-def: $vgpr5_vgpr6
                                        ; implicit-def: $vgpr1_vgpr2
	s_xor_b64 exec, exec, s[10:11]
	s_cbranch_execz .LBB6_15
.LBB6_7:
	s_load_dwordx2 s[12:13], s[4:5], 0x20
	s_mov_b32 s0, 0
	v_and_b32_e32 v1, 0x7fffffff, v7
	v_mov_b32_e32 v2, 0
	s_waitcnt lgkmcnt(0)
	s_mov_b32 s1, s13
	s_cmp_lg_u64 s[0:1], 0
	s_cbranch_scc0 .LBB6_13
; %bb.8:
	s_ashr_i32 s14, s13, 31
	s_add_u32 s0, s12, s14
	s_mov_b32 s15, s14
	s_addc_u32 s1, s13, s14
	s_xor_b64 s[16:17], s[0:1], s[14:15]
	v_cvt_f32_u32_e32 v3, s16
	v_cvt_f32_u32_e32 v4, s17
	s_sub_u32 s15, 0, s16
	s_subb_u32 s18, 0, s17
	v_add_co_u32_e32 v7, vcc, 0, v1
	v_madmk_f32 v3, v4, 0x4f800000, v3
	v_rcp_f32_e32 v3, v3
	v_mul_f32_e32 v3, 0x5f7ffffc, v3
	v_mul_f32_e32 v4, 0x2f800000, v3
	v_trunc_f32_e32 v4, v4
	v_madmk_f32 v3, v4, 0xcf800000, v3
	v_cvt_u32_f32_e32 v4, v4
	v_cvt_u32_f32_e32 v3, v3
	v_readfirstlane_b32 s19, v4
	v_readfirstlane_b32 s0, v3
	s_mul_i32 s1, s15, s19
	s_mul_hi_u32 s21, s15, s0
	s_mul_i32 s20, s18, s0
	s_add_i32 s1, s21, s1
	s_add_i32 s1, s1, s20
	s_mul_i32 s22, s15, s0
	s_mul_i32 s21, s0, s1
	s_mul_hi_u32 s23, s0, s22
	s_mul_hi_u32 s20, s0, s1
	s_add_u32 s21, s23, s21
	s_addc_u32 s20, 0, s20
	s_mul_hi_u32 s24, s19, s22
	s_mul_i32 s22, s19, s22
	s_add_u32 s21, s21, s22
	s_mul_hi_u32 s23, s19, s1
	s_addc_u32 s20, s20, s24
	s_addc_u32 s21, s23, 0
	s_mul_i32 s1, s19, s1
	s_add_u32 s1, s20, s1
	s_addc_u32 s20, 0, s21
	s_add_u32 s21, s0, s1
	s_cselect_b64 s[0:1], -1, 0
	s_cmp_lg_u64 s[0:1], 0
	s_addc_u32 s19, s19, s20
	s_mul_i32 s0, s15, s19
	s_mul_hi_u32 s1, s15, s21
	s_add_i32 s0, s1, s0
	s_mul_i32 s18, s18, s21
	s_add_i32 s0, s0, s18
	s_mul_i32 s15, s15, s21
	s_mul_hi_u32 s18, s19, s15
	s_mul_i32 s20, s19, s15
	s_mul_i32 s23, s21, s0
	s_mul_hi_u32 s15, s21, s15
	s_mul_hi_u32 s22, s21, s0
	s_add_u32 s15, s15, s23
	s_addc_u32 s22, 0, s22
	s_add_u32 s15, s15, s20
	s_mul_hi_u32 s1, s19, s0
	s_addc_u32 s15, s22, s18
	s_addc_u32 s1, s1, 0
	s_mul_i32 s0, s19, s0
	s_add_u32 s0, s15, s0
	s_addc_u32 s15, 0, s1
	s_add_u32 s18, s21, s0
	s_cselect_b64 s[0:1], -1, 0
	s_cmp_lg_u64 s[0:1], 0
	s_addc_u32 s15, s19, s15
	v_mad_u64_u32 v[3:4], s[0:1], v7, s15, 0
	v_mul_hi_u32 v5, v7, s18
	v_addc_co_u32_e64 v8, s[0:1], 0, 0, vcc
	v_add_co_u32_e32 v12, vcc, v5, v3
	v_addc_co_u32_e32 v13, vcc, 0, v4, vcc
	v_mad_u64_u32 v[3:4], s[0:1], v8, s18, 0
	v_mad_u64_u32 v[5:6], s[0:1], v8, s15, 0
	v_add_co_u32_e32 v3, vcc, v12, v3
	v_addc_co_u32_e32 v3, vcc, v13, v4, vcc
	v_addc_co_u32_e32 v4, vcc, 0, v6, vcc
	v_add_co_u32_e32 v5, vcc, v3, v5
	v_addc_co_u32_e32 v6, vcc, 0, v4, vcc
	v_mul_lo_u32 v12, s17, v5
	v_mul_lo_u32 v13, s16, v6
	v_mad_u64_u32 v[3:4], s[0:1], s16, v5, 0
	v_add3_u32 v4, v4, v13, v12
	v_sub_u32_e32 v12, v8, v4
	v_mov_b32_e32 v13, s17
	v_sub_co_u32_e32 v3, vcc, v7, v3
	v_subb_co_u32_e64 v7, s[0:1], v12, v13, vcc
	v_subrev_co_u32_e64 v12, s[0:1], s16, v3
	v_subbrev_co_u32_e64 v7, s[0:1], 0, v7, s[0:1]
	v_cmp_le_u32_e64 s[0:1], s17, v7
	v_cndmask_b32_e64 v13, 0, -1, s[0:1]
	v_cmp_le_u32_e64 s[0:1], s16, v12
	v_cndmask_b32_e64 v12, 0, -1, s[0:1]
	v_cmp_eq_u32_e64 s[0:1], s17, v7
	v_cndmask_b32_e64 v7, v13, v12, s[0:1]
	v_add_co_u32_e64 v12, s[0:1], 2, v5
	v_subb_co_u32_e32 v4, vcc, v8, v4, vcc
	v_addc_co_u32_e64 v13, s[0:1], 0, v6, s[0:1]
	v_cmp_le_u32_e32 vcc, s17, v4
	v_add_co_u32_e64 v14, s[0:1], 1, v5
	v_cndmask_b32_e64 v8, 0, -1, vcc
	v_cmp_le_u32_e32 vcc, s16, v3
	v_addc_co_u32_e64 v15, s[0:1], 0, v6, s[0:1]
	v_cndmask_b32_e64 v3, 0, -1, vcc
	v_cmp_eq_u32_e32 vcc, s17, v4
	v_cmp_ne_u32_e64 s[0:1], 0, v7
	v_cndmask_b32_e32 v3, v8, v3, vcc
	v_cndmask_b32_e64 v7, v15, v13, s[0:1]
	v_cmp_ne_u32_e32 vcc, 0, v3
	v_cndmask_b32_e64 v4, v14, v12, s[0:1]
	v_cndmask_b32_e32 v3, v6, v7, vcc
	v_cndmask_b32_e32 v4, v5, v4, vcc
	v_xor_b32_e32 v5, s14, v3
	v_xor_b32_e32 v3, s14, v4
	v_mov_b32_e32 v4, s14
	v_subrev_co_u32_e32 v3, vcc, s14, v3
	v_subb_co_u32_e32 v4, vcc, v5, v4, vcc
	s_cbranch_execnz .LBB6_10
.LBB6_9:
	v_cvt_f32_u32_e32 v3, s12
	s_sub_i32 s0, 0, s12
	v_rcp_iflag_f32_e32 v3, v3
	v_mul_f32_e32 v3, 0x4f7ffffe, v3
	v_cvt_u32_f32_e32 v3, v3
	v_mul_lo_u32 v4, s0, v3
	v_mul_hi_u32 v4, v3, v4
	v_add_u32_e32 v3, v3, v4
	v_mul_hi_u32 v3, v1, v3
	v_mul_lo_u32 v4, v3, s12
	v_add_u32_e32 v5, 1, v3
	v_sub_u32_e32 v4, v1, v4
	v_subrev_u32_e32 v6, s12, v4
	v_cmp_le_u32_e32 vcc, s12, v4
	v_cndmask_b32_e32 v4, v4, v6, vcc
	v_cndmask_b32_e32 v3, v3, v5, vcc
	v_add_u32_e32 v5, 1, v3
	v_cmp_le_u32_e32 vcc, s12, v4
	v_cndmask_b32_e32 v3, v3, v5, vcc
	v_mov_b32_e32 v4, 0
.LBB6_10:
	s_load_dwordx2 s[0:1], s[4:5], 0x18
	s_mov_b64 s[14:15], s[2:3]
	s_waitcnt lgkmcnt(0)
	v_cmp_le_i64_e32 vcc, s[0:1], v[3:4]
	s_mov_b64 s[0:1], -1
	s_and_saveexec_b64 s[16:17], vcc
	s_cbranch_execnz .LBB6_24
.LBB6_11:
	s_or_b64 exec, exec, s[16:17]
	v_mov_b32_e32 v5, s12
	v_mov_b32_e32 v6, s13
	s_andn2_b64 s[2:3], s[2:3], exec
	s_and_b64 s[12:13], s[14:15], exec
	s_and_b64 s[0:1], s[0:1], exec
	s_or_b64 s[2:3], s[2:3], s[12:13]
	s_or_b64 exec, exec, s[10:11]
	s_and_saveexec_b64 s[10:11], s[2:3]
	s_cbranch_execnz .LBB6_16
.LBB6_12:
	s_or_b64 exec, exec, s[10:11]
	s_and_b64 exec, exec, s[0:1]
	s_cbranch_execnz .LBB6_17
	s_branch .LBB6_23
.LBB6_13:
                                        ; implicit-def: $vgpr3_vgpr4
	s_branch .LBB6_9
.LBB6_14:
	s_mov_b64 s[2:3], exec
	s_trap 2
                                        ; implicit-def: $vgpr7_vgpr8
	s_or_saveexec_b64 s[10:11], s[10:11]
                                        ; implicit-def: $vgpr3_vgpr4
                                        ; implicit-def: $vgpr5_vgpr6
                                        ; implicit-def: $vgpr1_vgpr2
	s_xor_b64 exec, exec, s[10:11]
	s_cbranch_execnz .LBB6_7
.LBB6_15:
	s_or_b64 exec, exec, s[10:11]
	s_and_saveexec_b64 s[10:11], s[2:3]
	s_cbranch_execz .LBB6_12
.LBB6_16:
	; divergent unreachable
	s_or_b64 exec, exec, s[10:11]
	s_and_b64 exec, exec, s[0:1]
	s_cbranch_execz .LBB6_23
.LBB6_17:
	s_load_dwordx8 s[12:19], s[4:5], 0x28
	v_mul_lo_u32 v7, v4, v5
	v_mul_lo_u32 v8, v3, v6
	v_mad_u64_u32 v[5:6], s[0:1], v3, v5, 0
	s_load_dwordx2 s[0:1], s[4:5], 0x0
	s_load_dwordx2 s[2:3], s[4:5], 0x48
	s_waitcnt lgkmcnt(0)
	s_mul_i32 s10, s12, s6
	s_mul_hi_u32 s11, s12, s8
	s_add_i32 s10, s11, s10
	s_mul_i32 s11, s13, s8
	s_add_i32 s11, s10, s11
	s_mul_i32 s10, s12, s8
	s_lshl_b64 s[10:11], s[10:11], 1
	s_add_u32 s12, s0, s10
	s_addc_u32 s13, s1, s11
	s_mul_i32 s0, s14, s9
	s_mul_hi_u32 s1, s14, s7
	v_add3_u32 v6, v6, v8, v7
	v_sub_co_u32_e32 v5, vcc, v1, v5
	s_add_i32 s0, s1, s0
	s_mul_i32 s1, s15, s7
	v_subb_co_u32_e32 v6, vcc, v2, v6, vcc
	s_add_i32 s1, s0, s1
	s_mul_i32 s0, s14, s7
	v_mul_lo_u32 v7, s17, v3
	v_mul_lo_u32 v4, s16, v4
	v_mad_u64_u32 v[1:2], s[10:11], s16, v3, 0
	s_lshl_b64 s[0:1], s[0:1], 1
	s_add_u32 s10, s12, s0
	s_addc_u32 s0, s13, s1
	v_add3_u32 v2, v2, v4, v7
	v_mov_b32_e32 v7, s0
	v_mul_lo_u32 v8, s19, v5
	v_mul_lo_u32 v6, s18, v6
	v_mad_u64_u32 v[3:4], s[0:1], s18, v5, 0
	s_load_dwordx8 s[12:19], s[4:5], 0x70
	v_lshlrev_b64 v[1:2], 1, v[1:2]
	v_add3_u32 v4, v4, v6, v8
	v_add_co_u32_e32 v5, vcc, s10, v1
	s_waitcnt lgkmcnt(0)
	s_mul_i32 s0, s12, s6
	s_mul_hi_u32 s1, s12, s8
	s_add_i32 s0, s1, s0
	s_mul_i32 s1, s13, s8
	s_add_i32 s1, s0, s1
	s_mul_i32 s0, s12, s8
	s_lshl_b64 s[0:1], s[0:1], 1
	v_addc_co_u32_e32 v7, vcc, v7, v2, vcc
	v_lshlrev_b64 v[1:2], 1, v[3:4]
	s_add_u32 s4, s2, s0
	s_addc_u32 s5, s3, s1
	s_mul_i32 s0, s14, s9
	s_mul_hi_u32 s1, s14, s7
	v_add_co_u32_e32 v6, vcc, v5, v1
	s_add_i32 s0, s1, s0
	s_mul_i32 s1, s15, s7
	v_addc_co_u32_e32 v7, vcc, v7, v2, vcc
	s_add_i32 s1, s0, s1
	s_mul_i32 s0, s14, s7
	v_mul_lo_u32 v2, s17, v0
	v_mul_lo_u32 v3, s16, v11
	v_mad_u64_u32 v[0:1], s[2:3], s16, v0, 0
	s_lshl_b64 s[0:1], s[0:1], 1
	s_add_u32 s2, s4, s0
	s_addc_u32 s0, s5, s1
	v_add3_u32 v1, v1, v3, v2
	v_mov_b32_e32 v4, s0
	v_mul_lo_u32 v5, s19, v9
	v_mul_lo_u32 v8, s18, v10
	v_mad_u64_u32 v[2:3], s[0:1], s18, v9, 0
	v_lshlrev_b64 v[0:1], 1, v[0:1]
	s_mov_b64 s[4:5], 0
	v_add_co_u32_e32 v9, vcc, s2, v0
	v_add3_u32 v3, v3, v8, v5
	v_addc_co_u32_e32 v4, vcc, v4, v1, vcc
	v_lshlrev_b64 v[0:1], 1, v[2:3]
	v_and_b32_e32 v5, 2, v6
	v_add_co_u32_e32 v0, vcc, v9, v0
	v_addc_co_u32_e32 v1, vcc, v4, v1, vcc
	global_load_ushort v4, v[0:1], off
	v_sub_co_u32_e32 v0, vcc, 0, v5
	v_subb_co_u32_e64 v1, s[0:1], 0, 0, vcc
	v_add_co_u32_e32 v0, vcc, v6, v0
	v_addc_co_u32_e32 v1, vcc, v7, v1, vcc
	global_load_dword v3, v[0:1], off
	v_mov_b32_e32 v6, 0
	v_cmp_eq_u64_e32 vcc, 0, v[5:6]
	v_cmp_ne_u32_e64 s[0:1], 0, v5
	s_mov_b32 s6, 0xffff0000
	s_branch .LBB6_19
.LBB6_18:                               ;   in Loop: Header=BB6_19 Depth=1
	s_or_b64 exec, exec, s[2:3]
	global_atomic_cmpswap v2, v[0:1], v[2:3], off glc
	s_waitcnt vmcnt(0)
	v_cmp_eq_u32_e64 s[2:3], v3, v2
	s_or_b64 s[4:5], s[2:3], s[4:5]
	v_mov_b32_e32 v3, v2
	s_andn2_b64 exec, exec, s[4:5]
	s_cbranch_execz .LBB6_23
.LBB6_19:                               ; =>This Inner Loop Header: Depth=1
	s_waitcnt vmcnt(0)
	v_cndmask_b32_sdwa v2, v3, v3, vcc dst_sel:DWORD dst_unused:UNUSED_PAD src0_sel:WORD_1 src1_sel:DWORD
	v_add_f16_e32 v5, v4, v2
	s_and_saveexec_b64 s[2:3], s[0:1]
	s_xor_b64 s[2:3], exec, s[2:3]
; %bb.20:                               ;   in Loop: Header=BB6_19 Depth=1
	v_and_b32_e32 v2, 0xffff, v3
	v_lshl_or_b32 v2, v5, 16, v2
                                        ; implicit-def: $vgpr5
; %bb.21:                               ;   in Loop: Header=BB6_19 Depth=1
	s_andn2_saveexec_b64 s[2:3], s[2:3]
	s_cbranch_execz .LBB6_18
; %bb.22:                               ;   in Loop: Header=BB6_19 Depth=1
	v_and_or_b32 v2, v3, s6, v5
	s_branch .LBB6_18
.LBB6_23:
	s_endpgm
.LBB6_24:
	s_xor_b64 s[0:1], exec, -1
	s_or_b64 s[14:15], s[2:3], exec
	s_trap 2
	s_branch .LBB6_11
	.section	.rodata,"a",@progbits
	.p2align	6, 0x0
	.amdhsa_kernel _ZN2at6native12_GLOBAL__N_145fractional_max_pool2d_backward_out_cuda_frameIN3c104HalfEEEvN5torch10headeronly6detail27GenericPackedTensorAccessorINS7_14TensorAccessorINS3_8ArrayRefIlEET_Lm3ENS6_16DefaultPtrTraitsElEENS_6detail16IndexBoundsCheckILm4ElEESC_Lm4ESD_lEENS8_INS9_ISB_KSC_Lm3ESD_lEESH_SJ_Lm4ESD_lEENS8_INS9_ISB_KlLm3ESD_lEESH_SM_Lm4ESD_lEE
		.amdhsa_group_segment_fixed_size 0
		.amdhsa_private_segment_fixed_size 0
		.amdhsa_kernarg_size 472
		.amdhsa_user_sgpr_count 6
		.amdhsa_user_sgpr_private_segment_buffer 1
		.amdhsa_user_sgpr_dispatch_ptr 0
		.amdhsa_user_sgpr_queue_ptr 0
		.amdhsa_user_sgpr_kernarg_segment_ptr 1
		.amdhsa_user_sgpr_dispatch_id 0
		.amdhsa_user_sgpr_flat_scratch_init 0
		.amdhsa_user_sgpr_private_segment_size 0
		.amdhsa_uses_dynamic_stack 0
		.amdhsa_system_sgpr_private_segment_wavefront_offset 0
		.amdhsa_system_sgpr_workgroup_id_x 1
		.amdhsa_system_sgpr_workgroup_id_y 1
		.amdhsa_system_sgpr_workgroup_id_z 1
		.amdhsa_system_sgpr_workgroup_info 0
		.amdhsa_system_vgpr_workitem_id 0
		.amdhsa_next_free_vgpr 16
		.amdhsa_next_free_sgpr 25
		.amdhsa_reserve_vcc 1
		.amdhsa_reserve_flat_scratch 0
		.amdhsa_float_round_mode_32 0
		.amdhsa_float_round_mode_16_64 0
		.amdhsa_float_denorm_mode_32 3
		.amdhsa_float_denorm_mode_16_64 3
		.amdhsa_dx10_clamp 1
		.amdhsa_ieee_mode 1
		.amdhsa_fp16_overflow 0
		.amdhsa_exception_fp_ieee_invalid_op 0
		.amdhsa_exception_fp_denorm_src 0
		.amdhsa_exception_fp_ieee_div_zero 0
		.amdhsa_exception_fp_ieee_overflow 0
		.amdhsa_exception_fp_ieee_underflow 0
		.amdhsa_exception_fp_ieee_inexact 0
		.amdhsa_exception_int_div_zero 0
	.end_amdhsa_kernel
	.section	.text._ZN2at6native12_GLOBAL__N_145fractional_max_pool2d_backward_out_cuda_frameIN3c104HalfEEEvN5torch10headeronly6detail27GenericPackedTensorAccessorINS7_14TensorAccessorINS3_8ArrayRefIlEET_Lm3ENS6_16DefaultPtrTraitsElEENS_6detail16IndexBoundsCheckILm4ElEESC_Lm4ESD_lEENS8_INS9_ISB_KSC_Lm3ESD_lEESH_SJ_Lm4ESD_lEENS8_INS9_ISB_KlLm3ESD_lEESH_SM_Lm4ESD_lEE,"axG",@progbits,_ZN2at6native12_GLOBAL__N_145fractional_max_pool2d_backward_out_cuda_frameIN3c104HalfEEEvN5torch10headeronly6detail27GenericPackedTensorAccessorINS7_14TensorAccessorINS3_8ArrayRefIlEET_Lm3ENS6_16DefaultPtrTraitsElEENS_6detail16IndexBoundsCheckILm4ElEESC_Lm4ESD_lEENS8_INS9_ISB_KSC_Lm3ESD_lEESH_SJ_Lm4ESD_lEENS8_INS9_ISB_KlLm3ESD_lEESH_SM_Lm4ESD_lEE,comdat
.Lfunc_end6:
	.size	_ZN2at6native12_GLOBAL__N_145fractional_max_pool2d_backward_out_cuda_frameIN3c104HalfEEEvN5torch10headeronly6detail27GenericPackedTensorAccessorINS7_14TensorAccessorINS3_8ArrayRefIlEET_Lm3ENS6_16DefaultPtrTraitsElEENS_6detail16IndexBoundsCheckILm4ElEESC_Lm4ESD_lEENS8_INS9_ISB_KSC_Lm3ESD_lEESH_SJ_Lm4ESD_lEENS8_INS9_ISB_KlLm3ESD_lEESH_SM_Lm4ESD_lEE, .Lfunc_end6-_ZN2at6native12_GLOBAL__N_145fractional_max_pool2d_backward_out_cuda_frameIN3c104HalfEEEvN5torch10headeronly6detail27GenericPackedTensorAccessorINS7_14TensorAccessorINS3_8ArrayRefIlEET_Lm3ENS6_16DefaultPtrTraitsElEENS_6detail16IndexBoundsCheckILm4ElEESC_Lm4ESD_lEENS8_INS9_ISB_KSC_Lm3ESD_lEESH_SJ_Lm4ESD_lEENS8_INS9_ISB_KlLm3ESD_lEESH_SM_Lm4ESD_lEE
                                        ; -- End function
	.set _ZN2at6native12_GLOBAL__N_145fractional_max_pool2d_backward_out_cuda_frameIN3c104HalfEEEvN5torch10headeronly6detail27GenericPackedTensorAccessorINS7_14TensorAccessorINS3_8ArrayRefIlEET_Lm3ENS6_16DefaultPtrTraitsElEENS_6detail16IndexBoundsCheckILm4ElEESC_Lm4ESD_lEENS8_INS9_ISB_KSC_Lm3ESD_lEESH_SJ_Lm4ESD_lEENS8_INS9_ISB_KlLm3ESD_lEESH_SM_Lm4ESD_lEE.num_vgpr, 16
	.set _ZN2at6native12_GLOBAL__N_145fractional_max_pool2d_backward_out_cuda_frameIN3c104HalfEEEvN5torch10headeronly6detail27GenericPackedTensorAccessorINS7_14TensorAccessorINS3_8ArrayRefIlEET_Lm3ENS6_16DefaultPtrTraitsElEENS_6detail16IndexBoundsCheckILm4ElEESC_Lm4ESD_lEENS8_INS9_ISB_KSC_Lm3ESD_lEESH_SJ_Lm4ESD_lEENS8_INS9_ISB_KlLm3ESD_lEESH_SM_Lm4ESD_lEE.num_agpr, 0
	.set _ZN2at6native12_GLOBAL__N_145fractional_max_pool2d_backward_out_cuda_frameIN3c104HalfEEEvN5torch10headeronly6detail27GenericPackedTensorAccessorINS7_14TensorAccessorINS3_8ArrayRefIlEET_Lm3ENS6_16DefaultPtrTraitsElEENS_6detail16IndexBoundsCheckILm4ElEESC_Lm4ESD_lEENS8_INS9_ISB_KSC_Lm3ESD_lEESH_SJ_Lm4ESD_lEENS8_INS9_ISB_KlLm3ESD_lEESH_SM_Lm4ESD_lEE.numbered_sgpr, 25
	.set _ZN2at6native12_GLOBAL__N_145fractional_max_pool2d_backward_out_cuda_frameIN3c104HalfEEEvN5torch10headeronly6detail27GenericPackedTensorAccessorINS7_14TensorAccessorINS3_8ArrayRefIlEET_Lm3ENS6_16DefaultPtrTraitsElEENS_6detail16IndexBoundsCheckILm4ElEESC_Lm4ESD_lEENS8_INS9_ISB_KSC_Lm3ESD_lEESH_SJ_Lm4ESD_lEENS8_INS9_ISB_KlLm3ESD_lEESH_SM_Lm4ESD_lEE.num_named_barrier, 0
	.set _ZN2at6native12_GLOBAL__N_145fractional_max_pool2d_backward_out_cuda_frameIN3c104HalfEEEvN5torch10headeronly6detail27GenericPackedTensorAccessorINS7_14TensorAccessorINS3_8ArrayRefIlEET_Lm3ENS6_16DefaultPtrTraitsElEENS_6detail16IndexBoundsCheckILm4ElEESC_Lm4ESD_lEENS8_INS9_ISB_KSC_Lm3ESD_lEESH_SJ_Lm4ESD_lEENS8_INS9_ISB_KlLm3ESD_lEESH_SM_Lm4ESD_lEE.private_seg_size, 0
	.set _ZN2at6native12_GLOBAL__N_145fractional_max_pool2d_backward_out_cuda_frameIN3c104HalfEEEvN5torch10headeronly6detail27GenericPackedTensorAccessorINS7_14TensorAccessorINS3_8ArrayRefIlEET_Lm3ENS6_16DefaultPtrTraitsElEENS_6detail16IndexBoundsCheckILm4ElEESC_Lm4ESD_lEENS8_INS9_ISB_KSC_Lm3ESD_lEESH_SJ_Lm4ESD_lEENS8_INS9_ISB_KlLm3ESD_lEESH_SM_Lm4ESD_lEE.uses_vcc, 1
	.set _ZN2at6native12_GLOBAL__N_145fractional_max_pool2d_backward_out_cuda_frameIN3c104HalfEEEvN5torch10headeronly6detail27GenericPackedTensorAccessorINS7_14TensorAccessorINS3_8ArrayRefIlEET_Lm3ENS6_16DefaultPtrTraitsElEENS_6detail16IndexBoundsCheckILm4ElEESC_Lm4ESD_lEENS8_INS9_ISB_KSC_Lm3ESD_lEESH_SJ_Lm4ESD_lEENS8_INS9_ISB_KlLm3ESD_lEESH_SM_Lm4ESD_lEE.uses_flat_scratch, 0
	.set _ZN2at6native12_GLOBAL__N_145fractional_max_pool2d_backward_out_cuda_frameIN3c104HalfEEEvN5torch10headeronly6detail27GenericPackedTensorAccessorINS7_14TensorAccessorINS3_8ArrayRefIlEET_Lm3ENS6_16DefaultPtrTraitsElEENS_6detail16IndexBoundsCheckILm4ElEESC_Lm4ESD_lEENS8_INS9_ISB_KSC_Lm3ESD_lEESH_SJ_Lm4ESD_lEENS8_INS9_ISB_KlLm3ESD_lEESH_SM_Lm4ESD_lEE.has_dyn_sized_stack, 0
	.set _ZN2at6native12_GLOBAL__N_145fractional_max_pool2d_backward_out_cuda_frameIN3c104HalfEEEvN5torch10headeronly6detail27GenericPackedTensorAccessorINS7_14TensorAccessorINS3_8ArrayRefIlEET_Lm3ENS6_16DefaultPtrTraitsElEENS_6detail16IndexBoundsCheckILm4ElEESC_Lm4ESD_lEENS8_INS9_ISB_KSC_Lm3ESD_lEESH_SJ_Lm4ESD_lEENS8_INS9_ISB_KlLm3ESD_lEESH_SM_Lm4ESD_lEE.has_recursion, 0
	.set _ZN2at6native12_GLOBAL__N_145fractional_max_pool2d_backward_out_cuda_frameIN3c104HalfEEEvN5torch10headeronly6detail27GenericPackedTensorAccessorINS7_14TensorAccessorINS3_8ArrayRefIlEET_Lm3ENS6_16DefaultPtrTraitsElEENS_6detail16IndexBoundsCheckILm4ElEESC_Lm4ESD_lEENS8_INS9_ISB_KSC_Lm3ESD_lEESH_SJ_Lm4ESD_lEENS8_INS9_ISB_KlLm3ESD_lEESH_SM_Lm4ESD_lEE.has_indirect_call, 0
	.section	.AMDGPU.csdata,"",@progbits
; Kernel info:
; codeLenInByte = 2624
; TotalNumSgprs: 29
; NumVgprs: 16
; ScratchSize: 0
; MemoryBound: 0
; FloatMode: 240
; IeeeMode: 1
; LDSByteSize: 0 bytes/workgroup (compile time only)
; SGPRBlocks: 3
; VGPRBlocks: 3
; NumSGPRsForWavesPerEU: 29
; NumVGPRsForWavesPerEU: 16
; Occupancy: 10
; WaveLimiterHint : 1
; COMPUTE_PGM_RSRC2:SCRATCH_EN: 0
; COMPUTE_PGM_RSRC2:USER_SGPR: 6
; COMPUTE_PGM_RSRC2:TRAP_HANDLER: 0
; COMPUTE_PGM_RSRC2:TGID_X_EN: 1
; COMPUTE_PGM_RSRC2:TGID_Y_EN: 1
; COMPUTE_PGM_RSRC2:TGID_Z_EN: 1
; COMPUTE_PGM_RSRC2:TIDIG_COMP_CNT: 0
	.section	.text._ZN2at6native12_GLOBAL__N_145fractional_max_pool2d_backward_out_cuda_frameIN3c108BFloat16EEEvN5torch10headeronly6detail27GenericPackedTensorAccessorINS7_14TensorAccessorINS3_8ArrayRefIlEET_Lm3ENS6_16DefaultPtrTraitsElEENS_6detail16IndexBoundsCheckILm4ElEESC_Lm4ESD_lEENS8_INS9_ISB_KSC_Lm3ESD_lEESH_SJ_Lm4ESD_lEENS8_INS9_ISB_KlLm3ESD_lEESH_SM_Lm4ESD_lEE,"axG",@progbits,_ZN2at6native12_GLOBAL__N_145fractional_max_pool2d_backward_out_cuda_frameIN3c108BFloat16EEEvN5torch10headeronly6detail27GenericPackedTensorAccessorINS7_14TensorAccessorINS3_8ArrayRefIlEET_Lm3ENS6_16DefaultPtrTraitsElEENS_6detail16IndexBoundsCheckILm4ElEESC_Lm4ESD_lEENS8_INS9_ISB_KSC_Lm3ESD_lEESH_SJ_Lm4ESD_lEENS8_INS9_ISB_KlLm3ESD_lEESH_SM_Lm4ESD_lEE,comdat
	.globl	_ZN2at6native12_GLOBAL__N_145fractional_max_pool2d_backward_out_cuda_frameIN3c108BFloat16EEEvN5torch10headeronly6detail27GenericPackedTensorAccessorINS7_14TensorAccessorINS3_8ArrayRefIlEET_Lm3ENS6_16DefaultPtrTraitsElEENS_6detail16IndexBoundsCheckILm4ElEESC_Lm4ESD_lEENS8_INS9_ISB_KSC_Lm3ESD_lEESH_SJ_Lm4ESD_lEENS8_INS9_ISB_KlLm3ESD_lEESH_SM_Lm4ESD_lEE ; -- Begin function _ZN2at6native12_GLOBAL__N_145fractional_max_pool2d_backward_out_cuda_frameIN3c108BFloat16EEEvN5torch10headeronly6detail27GenericPackedTensorAccessorINS7_14TensorAccessorINS3_8ArrayRefIlEET_Lm3ENS6_16DefaultPtrTraitsElEENS_6detail16IndexBoundsCheckILm4ElEESC_Lm4ESD_lEENS8_INS9_ISB_KSC_Lm3ESD_lEESH_SJ_Lm4ESD_lEENS8_INS9_ISB_KlLm3ESD_lEESH_SM_Lm4ESD_lEE
	.p2align	8
	.type	_ZN2at6native12_GLOBAL__N_145fractional_max_pool2d_backward_out_cuda_frameIN3c108BFloat16EEEvN5torch10headeronly6detail27GenericPackedTensorAccessorINS7_14TensorAccessorINS3_8ArrayRefIlEET_Lm3ENS6_16DefaultPtrTraitsElEENS_6detail16IndexBoundsCheckILm4ElEESC_Lm4ESD_lEENS8_INS9_ISB_KSC_Lm3ESD_lEESH_SJ_Lm4ESD_lEENS8_INS9_ISB_KlLm3ESD_lEESH_SM_Lm4ESD_lEE,@function
_ZN2at6native12_GLOBAL__N_145fractional_max_pool2d_backward_out_cuda_frameIN3c108BFloat16EEEvN5torch10headeronly6detail27GenericPackedTensorAccessorINS7_14TensorAccessorINS3_8ArrayRefIlEET_Lm3ENS6_16DefaultPtrTraitsElEENS_6detail16IndexBoundsCheckILm4ElEESC_Lm4ESD_lEENS8_INS9_ISB_KSC_Lm3ESD_lEESH_SJ_Lm4ESD_lEENS8_INS9_ISB_KlLm3ESD_lEESH_SM_Lm4ESD_lEE: ; @_ZN2at6native12_GLOBAL__N_145fractional_max_pool2d_backward_out_cuda_frameIN3c108BFloat16EEEvN5torch10headeronly6detail27GenericPackedTensorAccessorINS7_14TensorAccessorINS3_8ArrayRefIlEET_Lm3ENS6_16DefaultPtrTraitsElEENS_6detail16IndexBoundsCheckILm4ElEESC_Lm4ESD_lEENS8_INS9_ISB_KSC_Lm3ESD_lEESH_SJ_Lm4ESD_lEENS8_INS9_ISB_KlLm3ESD_lEESH_SM_Lm4ESD_lEE
; %bb.0:
	s_load_dword s9, s[4:5], 0xe4
	s_load_dwordx4 s[0:3], s[4:5], 0x60
	s_waitcnt lgkmcnt(0)
	s_and_b32 s9, s9, 0xffff
	s_mul_i32 s6, s6, s9
	v_add_u32_e32 v2, s6, v0
	s_mul_i32 s1, s2, s1
	s_mul_hi_u32 s6, s2, s0
	s_add_i32 s1, s6, s1
	s_mul_i32 s6, s3, s0
	v_ashrrev_i32_e32 v3, 31, v2
	s_add_i32 s1, s1, s6
	s_mul_i32 s0, s2, s0
	v_cmp_gt_i64_e32 vcc, s[0:1], v[2:3]
	s_and_saveexec_b64 s[0:1], vcc
	s_cbranch_execz .LBB7_19
; %bb.1:
	v_or_b32_e32 v1, s3, v3
	v_mov_b32_e32 v0, 0
	v_cmp_ne_u64_e32 vcc, 0, v[0:1]
                                        ; implicit-def: $vgpr0_vgpr1
	s_and_saveexec_b64 s[0:1], vcc
	s_xor_b64 s[10:11], exec, s[0:1]
	s_cbranch_execz .LBB7_3
; %bb.2:
	s_ashr_i32 s12, s3, 31
	s_add_u32 s0, s2, s12
	s_mov_b32 s13, s12
	s_addc_u32 s1, s3, s12
	s_xor_b64 s[14:15], s[0:1], s[12:13]
	v_cvt_f32_u32_e32 v0, s14
	v_cvt_f32_u32_e32 v1, s15
	s_sub_u32 s6, 0, s14
	s_subb_u32 s9, 0, s15
	v_ashrrev_i32_e32 v6, 31, v3
	v_madmk_f32 v0, v1, 0x4f800000, v0
	v_rcp_f32_e32 v0, v0
	v_mul_f32_e32 v0, 0x5f7ffffc, v0
	v_mul_f32_e32 v1, 0x2f800000, v0
	v_trunc_f32_e32 v1, v1
	v_madmk_f32 v0, v1, 0xcf800000, v0
	v_cvt_u32_f32_e32 v1, v1
	v_cvt_u32_f32_e32 v0, v0
	v_readfirstlane_b32 s13, v1
	v_readfirstlane_b32 s0, v0
	s_mul_i32 s1, s6, s13
	s_mul_hi_u32 s17, s6, s0
	s_mul_i32 s16, s9, s0
	s_add_i32 s1, s17, s1
	s_add_i32 s1, s1, s16
	s_mul_i32 s18, s6, s0
	s_mul_i32 s17, s0, s1
	s_mul_hi_u32 s19, s0, s18
	s_mul_hi_u32 s16, s0, s1
	s_add_u32 s17, s19, s17
	s_addc_u32 s16, 0, s16
	s_mul_hi_u32 s20, s13, s18
	s_mul_i32 s18, s13, s18
	s_add_u32 s17, s17, s18
	s_mul_hi_u32 s19, s13, s1
	s_addc_u32 s16, s16, s20
	s_addc_u32 s17, s19, 0
	s_mul_i32 s1, s13, s1
	s_add_u32 s1, s16, s1
	s_addc_u32 s16, 0, s17
	s_add_u32 s17, s0, s1
	s_cselect_b64 s[0:1], -1, 0
	s_cmp_lg_u64 s[0:1], 0
	s_addc_u32 s13, s13, s16
	s_mul_i32 s0, s6, s13
	s_mul_hi_u32 s1, s6, s17
	s_add_i32 s0, s1, s0
	s_mul_i32 s9, s9, s17
	s_add_i32 s0, s0, s9
	s_mul_i32 s6, s6, s17
	s_mul_hi_u32 s9, s13, s6
	s_mul_i32 s16, s13, s6
	s_mul_i32 s19, s17, s0
	s_mul_hi_u32 s6, s17, s6
	s_mul_hi_u32 s18, s17, s0
	s_add_u32 s6, s6, s19
	s_addc_u32 s18, 0, s18
	s_add_u32 s6, s6, s16
	s_mul_hi_u32 s1, s13, s0
	s_addc_u32 s6, s18, s9
	s_addc_u32 s1, s1, 0
	s_mul_i32 s0, s13, s0
	s_add_u32 s0, s6, s0
	s_addc_u32 s6, 0, s1
	s_add_u32 s9, s17, s0
	s_cselect_b64 s[0:1], -1, 0
	s_cmp_lg_u64 s[0:1], 0
	v_add_co_u32_e32 v0, vcc, v2, v6
	s_addc_u32 s6, s13, s6
	v_xor_b32_e32 v7, v0, v6
	v_mad_u64_u32 v[0:1], s[0:1], v7, s6, 0
	v_mul_hi_u32 v5, v7, s9
	v_addc_co_u32_e32 v4, vcc, v3, v6, vcc
	v_xor_b32_e32 v8, v4, v6
	v_add_co_u32_e32 v9, vcc, v5, v0
	v_addc_co_u32_e32 v10, vcc, 0, v1, vcc
	v_mad_u64_u32 v[0:1], s[0:1], v8, s9, 0
	v_mad_u64_u32 v[4:5], s[0:1], v8, s6, 0
	v_add_co_u32_e32 v0, vcc, v9, v0
	v_addc_co_u32_e32 v0, vcc, v10, v1, vcc
	v_addc_co_u32_e32 v1, vcc, 0, v5, vcc
	v_add_co_u32_e32 v4, vcc, v0, v4
	v_addc_co_u32_e32 v5, vcc, 0, v1, vcc
	v_mul_lo_u32 v9, s15, v4
	v_mul_lo_u32 v10, s14, v5
	v_mad_u64_u32 v[0:1], s[0:1], s14, v4, 0
	v_add3_u32 v1, v1, v10, v9
	v_sub_u32_e32 v9, v8, v1
	v_mov_b32_e32 v10, s15
	v_sub_co_u32_e32 v0, vcc, v7, v0
	v_subb_co_u32_e64 v7, s[0:1], v9, v10, vcc
	v_subrev_co_u32_e64 v9, s[0:1], s14, v0
	v_subbrev_co_u32_e64 v7, s[0:1], 0, v7, s[0:1]
	v_cmp_le_u32_e64 s[0:1], s15, v7
	v_cndmask_b32_e64 v10, 0, -1, s[0:1]
	v_cmp_le_u32_e64 s[0:1], s14, v9
	v_cndmask_b32_e64 v9, 0, -1, s[0:1]
	v_cmp_eq_u32_e64 s[0:1], s15, v7
	v_cndmask_b32_e64 v7, v10, v9, s[0:1]
	v_add_co_u32_e64 v9, s[0:1], 2, v4
	v_subb_co_u32_e32 v1, vcc, v8, v1, vcc
	v_addc_co_u32_e64 v10, s[0:1], 0, v5, s[0:1]
	v_cmp_le_u32_e32 vcc, s15, v1
	v_add_co_u32_e64 v11, s[0:1], 1, v4
	v_cndmask_b32_e64 v8, 0, -1, vcc
	v_cmp_le_u32_e32 vcc, s14, v0
	v_addc_co_u32_e64 v12, s[0:1], 0, v5, s[0:1]
	v_cndmask_b32_e64 v0, 0, -1, vcc
	v_cmp_eq_u32_e32 vcc, s15, v1
	v_cmp_ne_u32_e64 s[0:1], 0, v7
	v_cndmask_b32_e32 v0, v8, v0, vcc
	v_cndmask_b32_e64 v7, v12, v10, s[0:1]
	v_cmp_ne_u32_e32 vcc, 0, v0
	v_cndmask_b32_e64 v1, v11, v9, s[0:1]
	v_cndmask_b32_e32 v0, v5, v7, vcc
	v_cndmask_b32_e32 v1, v4, v1, vcc
	v_xor_b32_e32 v4, s12, v6
	v_xor_b32_e32 v5, v0, v4
	;; [unrolled: 1-line block ×3, first 2 shown]
	v_sub_co_u32_e32 v0, vcc, v0, v4
	v_subb_co_u32_e32 v1, vcc, v5, v4, vcc
.LBB7_3:
	s_andn2_saveexec_b64 s[0:1], s[10:11]
	s_cbranch_execz .LBB7_5
; %bb.4:
	v_cvt_f32_u32_e32 v0, s2
	s_sub_i32 s6, 0, s2
	v_rcp_iflag_f32_e32 v0, v0
	v_mul_f32_e32 v0, 0x4f7ffffe, v0
	v_cvt_u32_f32_e32 v0, v0
	v_mul_lo_u32 v1, s6, v0
	v_mul_hi_u32 v1, v0, v1
	v_add_u32_e32 v0, v0, v1
	v_mul_hi_u32 v0, v2, v0
	v_mul_lo_u32 v1, v0, s2
	v_add_u32_e32 v4, 1, v0
	v_sub_u32_e32 v1, v2, v1
	v_subrev_u32_e32 v5, s2, v1
	v_cmp_le_u32_e32 vcc, s2, v1
	v_cndmask_b32_e32 v1, v1, v5, vcc
	v_cndmask_b32_e32 v0, v0, v4, vcc
	v_add_u32_e32 v4, 1, v0
	v_cmp_le_u32_e32 vcc, s2, v1
	v_cndmask_b32_e32 v0, v0, v4, vcc
	v_mov_b32_e32 v1, 0
.LBB7_5:
	s_or_b64 exec, exec, s[0:1]
	s_load_dwordx8 s[12:19], s[4:5], 0xb8
	v_mad_u64_u32 v[4:5], s[0:1], v0, s2, 0
	s_ashr_i32 s6, s8, 31
	s_load_dwordx2 s[0:1], s[4:5], 0x90
	v_mul_lo_u32 v1, v1, s2
	v_mul_lo_u32 v6, v0, s3
	s_waitcnt lgkmcnt(0)
	s_mul_hi_u32 s2, s12, s8
	s_mul_i32 s3, s12, s6
	s_add_i32 s2, s2, s3
	s_mul_i32 s3, s13, s8
	s_add_i32 s3, s2, s3
	s_mul_i32 s2, s12, s8
	s_lshl_b64 s[2:3], s[2:3], 3
	s_add_u32 s10, s0, s2
	s_addc_u32 s11, s1, s3
	s_ashr_i32 s9, s7, 31
	s_mul_hi_u32 s0, s14, s7
	s_mul_i32 s1, s14, s9
	v_add3_u32 v1, v5, v6, v1
	v_sub_co_u32_e32 v9, vcc, v2, v4
	s_add_i32 s0, s0, s1
	s_mul_i32 s1, s15, s7
	v_ashrrev_i32_e32 v11, 31, v0
	v_subb_co_u32_e32 v10, vcc, v3, v1, vcc
	s_add_i32 s1, s0, s1
	s_mul_i32 s0, s14, s7
	v_mul_lo_u32 v3, s17, v0
	v_mul_lo_u32 v4, s16, v11
	v_mad_u64_u32 v[1:2], s[2:3], s16, v0, 0
	s_lshl_b64 s[0:1], s[0:1], 3
	s_add_u32 s2, s10, s0
	s_addc_u32 s0, s11, s1
	v_add3_u32 v2, v2, v4, v3
	v_mov_b32_e32 v5, s0
	v_mul_lo_u32 v6, s19, v9
	v_mul_lo_u32 v7, s18, v10
	v_mad_u64_u32 v[3:4], s[0:1], s18, v9, 0
	v_lshlrev_b64 v[1:2], 3, v[1:2]
	s_mov_b64 s[0:1], 0
	v_add_co_u32_e32 v8, vcc, s2, v1
	v_add3_u32 v4, v4, v7, v6
	v_addc_co_u32_e32 v5, vcc, v5, v2, vcc
	v_lshlrev_b64 v[1:2], 3, v[3:4]
	s_mov_b64 s[2:3], 0
	v_add_co_u32_e32 v1, vcc, v8, v1
	v_addc_co_u32_e32 v2, vcc, v5, v2, vcc
	global_load_dwordx2 v[7:8], v[1:2], off
	s_waitcnt vmcnt(0)
	v_and_b32_e32 v1, 0x80000000, v7
	v_cmp_ne_u32_e32 vcc, 0, v1
	s_and_saveexec_b64 s[10:11], vcc
	s_xor_b64 s[10:11], exec, s[10:11]
	s_cbranch_execnz .LBB7_14
; %bb.6:
	s_or_saveexec_b64 s[10:11], s[10:11]
                                        ; implicit-def: $vgpr3_vgpr4
                                        ; implicit-def: $vgpr5_vgpr6
                                        ; implicit-def: $vgpr1_vgpr2
	s_xor_b64 exec, exec, s[10:11]
	s_cbranch_execz .LBB7_15
.LBB7_7:
	s_load_dwordx2 s[12:13], s[4:5], 0x20
	s_mov_b32 s0, 0
	v_and_b32_e32 v1, 0x7fffffff, v7
	v_mov_b32_e32 v2, 0
	s_waitcnt lgkmcnt(0)
	s_mov_b32 s1, s13
	s_cmp_lg_u64 s[0:1], 0
	s_cbranch_scc0 .LBB7_13
; %bb.8:
	s_ashr_i32 s14, s13, 31
	s_add_u32 s0, s12, s14
	s_mov_b32 s15, s14
	s_addc_u32 s1, s13, s14
	s_xor_b64 s[16:17], s[0:1], s[14:15]
	v_cvt_f32_u32_e32 v3, s16
	v_cvt_f32_u32_e32 v4, s17
	s_sub_u32 s15, 0, s16
	s_subb_u32 s18, 0, s17
	v_add_co_u32_e32 v7, vcc, 0, v1
	v_madmk_f32 v3, v4, 0x4f800000, v3
	v_rcp_f32_e32 v3, v3
	v_mul_f32_e32 v3, 0x5f7ffffc, v3
	v_mul_f32_e32 v4, 0x2f800000, v3
	v_trunc_f32_e32 v4, v4
	v_madmk_f32 v3, v4, 0xcf800000, v3
	v_cvt_u32_f32_e32 v4, v4
	v_cvt_u32_f32_e32 v3, v3
	v_readfirstlane_b32 s19, v4
	v_readfirstlane_b32 s0, v3
	s_mul_i32 s1, s15, s19
	s_mul_hi_u32 s21, s15, s0
	s_mul_i32 s20, s18, s0
	s_add_i32 s1, s21, s1
	s_add_i32 s1, s1, s20
	s_mul_i32 s22, s15, s0
	s_mul_i32 s21, s0, s1
	s_mul_hi_u32 s23, s0, s22
	s_mul_hi_u32 s20, s0, s1
	s_add_u32 s21, s23, s21
	s_addc_u32 s20, 0, s20
	s_mul_hi_u32 s24, s19, s22
	s_mul_i32 s22, s19, s22
	s_add_u32 s21, s21, s22
	s_mul_hi_u32 s23, s19, s1
	s_addc_u32 s20, s20, s24
	s_addc_u32 s21, s23, 0
	s_mul_i32 s1, s19, s1
	s_add_u32 s1, s20, s1
	s_addc_u32 s20, 0, s21
	s_add_u32 s21, s0, s1
	s_cselect_b64 s[0:1], -1, 0
	s_cmp_lg_u64 s[0:1], 0
	s_addc_u32 s19, s19, s20
	s_mul_i32 s0, s15, s19
	s_mul_hi_u32 s1, s15, s21
	s_add_i32 s0, s1, s0
	s_mul_i32 s18, s18, s21
	s_add_i32 s0, s0, s18
	s_mul_i32 s15, s15, s21
	s_mul_hi_u32 s18, s19, s15
	s_mul_i32 s20, s19, s15
	s_mul_i32 s23, s21, s0
	s_mul_hi_u32 s15, s21, s15
	s_mul_hi_u32 s22, s21, s0
	s_add_u32 s15, s15, s23
	s_addc_u32 s22, 0, s22
	s_add_u32 s15, s15, s20
	s_mul_hi_u32 s1, s19, s0
	s_addc_u32 s15, s22, s18
	s_addc_u32 s1, s1, 0
	s_mul_i32 s0, s19, s0
	s_add_u32 s0, s15, s0
	s_addc_u32 s15, 0, s1
	s_add_u32 s18, s21, s0
	s_cselect_b64 s[0:1], -1, 0
	s_cmp_lg_u64 s[0:1], 0
	s_addc_u32 s15, s19, s15
	v_mad_u64_u32 v[3:4], s[0:1], v7, s15, 0
	v_mul_hi_u32 v5, v7, s18
	v_addc_co_u32_e64 v8, s[0:1], 0, 0, vcc
	v_add_co_u32_e32 v12, vcc, v5, v3
	v_addc_co_u32_e32 v13, vcc, 0, v4, vcc
	v_mad_u64_u32 v[3:4], s[0:1], v8, s18, 0
	v_mad_u64_u32 v[5:6], s[0:1], v8, s15, 0
	v_add_co_u32_e32 v3, vcc, v12, v3
	v_addc_co_u32_e32 v3, vcc, v13, v4, vcc
	v_addc_co_u32_e32 v4, vcc, 0, v6, vcc
	v_add_co_u32_e32 v5, vcc, v3, v5
	v_addc_co_u32_e32 v6, vcc, 0, v4, vcc
	v_mul_lo_u32 v12, s17, v5
	v_mul_lo_u32 v13, s16, v6
	v_mad_u64_u32 v[3:4], s[0:1], s16, v5, 0
	v_add3_u32 v4, v4, v13, v12
	v_sub_u32_e32 v12, v8, v4
	v_mov_b32_e32 v13, s17
	v_sub_co_u32_e32 v3, vcc, v7, v3
	v_subb_co_u32_e64 v7, s[0:1], v12, v13, vcc
	v_subrev_co_u32_e64 v12, s[0:1], s16, v3
	v_subbrev_co_u32_e64 v7, s[0:1], 0, v7, s[0:1]
	v_cmp_le_u32_e64 s[0:1], s17, v7
	v_cndmask_b32_e64 v13, 0, -1, s[0:1]
	v_cmp_le_u32_e64 s[0:1], s16, v12
	v_cndmask_b32_e64 v12, 0, -1, s[0:1]
	v_cmp_eq_u32_e64 s[0:1], s17, v7
	v_cndmask_b32_e64 v7, v13, v12, s[0:1]
	v_add_co_u32_e64 v12, s[0:1], 2, v5
	v_subb_co_u32_e32 v4, vcc, v8, v4, vcc
	v_addc_co_u32_e64 v13, s[0:1], 0, v6, s[0:1]
	v_cmp_le_u32_e32 vcc, s17, v4
	v_add_co_u32_e64 v14, s[0:1], 1, v5
	v_cndmask_b32_e64 v8, 0, -1, vcc
	v_cmp_le_u32_e32 vcc, s16, v3
	v_addc_co_u32_e64 v15, s[0:1], 0, v6, s[0:1]
	v_cndmask_b32_e64 v3, 0, -1, vcc
	v_cmp_eq_u32_e32 vcc, s17, v4
	v_cmp_ne_u32_e64 s[0:1], 0, v7
	v_cndmask_b32_e32 v3, v8, v3, vcc
	v_cndmask_b32_e64 v7, v15, v13, s[0:1]
	v_cmp_ne_u32_e32 vcc, 0, v3
	v_cndmask_b32_e64 v4, v14, v12, s[0:1]
	v_cndmask_b32_e32 v3, v6, v7, vcc
	v_cndmask_b32_e32 v4, v5, v4, vcc
	v_xor_b32_e32 v5, s14, v3
	v_xor_b32_e32 v3, s14, v4
	v_mov_b32_e32 v4, s14
	v_subrev_co_u32_e32 v3, vcc, s14, v3
	v_subb_co_u32_e32 v4, vcc, v5, v4, vcc
	s_cbranch_execnz .LBB7_10
.LBB7_9:
	v_cvt_f32_u32_e32 v3, s12
	s_sub_i32 s0, 0, s12
	v_rcp_iflag_f32_e32 v3, v3
	v_mul_f32_e32 v3, 0x4f7ffffe, v3
	v_cvt_u32_f32_e32 v3, v3
	v_mul_lo_u32 v4, s0, v3
	v_mul_hi_u32 v4, v3, v4
	v_add_u32_e32 v3, v3, v4
	v_mul_hi_u32 v3, v1, v3
	v_mul_lo_u32 v4, v3, s12
	v_add_u32_e32 v5, 1, v3
	v_sub_u32_e32 v4, v1, v4
	v_subrev_u32_e32 v6, s12, v4
	v_cmp_le_u32_e32 vcc, s12, v4
	v_cndmask_b32_e32 v4, v4, v6, vcc
	v_cndmask_b32_e32 v3, v3, v5, vcc
	v_add_u32_e32 v5, 1, v3
	v_cmp_le_u32_e32 vcc, s12, v4
	v_cndmask_b32_e32 v3, v3, v5, vcc
	v_mov_b32_e32 v4, 0
.LBB7_10:
	s_load_dwordx2 s[0:1], s[4:5], 0x18
	s_mov_b64 s[14:15], s[2:3]
	s_waitcnt lgkmcnt(0)
	v_cmp_le_i64_e32 vcc, s[0:1], v[3:4]
	s_mov_b64 s[0:1], -1
	s_and_saveexec_b64 s[16:17], vcc
	s_cbranch_execnz .LBB7_20
.LBB7_11:
	s_or_b64 exec, exec, s[16:17]
	v_mov_b32_e32 v5, s12
	v_mov_b32_e32 v6, s13
	s_andn2_b64 s[2:3], s[2:3], exec
	s_and_b64 s[12:13], s[14:15], exec
	s_and_b64 s[0:1], s[0:1], exec
	s_or_b64 s[2:3], s[2:3], s[12:13]
	s_or_b64 exec, exec, s[10:11]
	s_and_saveexec_b64 s[10:11], s[2:3]
	s_cbranch_execnz .LBB7_16
.LBB7_12:
	s_or_b64 exec, exec, s[10:11]
	s_and_b64 exec, exec, s[0:1]
	s_cbranch_execnz .LBB7_17
	s_branch .LBB7_19
.LBB7_13:
                                        ; implicit-def: $vgpr3_vgpr4
	s_branch .LBB7_9
.LBB7_14:
	s_mov_b64 s[2:3], exec
	s_trap 2
                                        ; implicit-def: $vgpr7_vgpr8
	s_or_saveexec_b64 s[10:11], s[10:11]
                                        ; implicit-def: $vgpr3_vgpr4
                                        ; implicit-def: $vgpr5_vgpr6
                                        ; implicit-def: $vgpr1_vgpr2
	s_xor_b64 exec, exec, s[10:11]
	s_cbranch_execnz .LBB7_7
.LBB7_15:
	s_or_b64 exec, exec, s[10:11]
	s_and_saveexec_b64 s[10:11], s[2:3]
	s_cbranch_execz .LBB7_12
.LBB7_16:
	; divergent unreachable
	s_or_b64 exec, exec, s[10:11]
	s_and_b64 exec, exec, s[0:1]
	s_cbranch_execz .LBB7_19
.LBB7_17:
	s_load_dwordx8 s[12:19], s[4:5], 0x28
	v_mul_lo_u32 v7, v4, v5
	v_mul_lo_u32 v8, v3, v6
	v_mad_u64_u32 v[5:6], s[0:1], v3, v5, 0
	s_load_dwordx2 s[0:1], s[4:5], 0x0
	s_load_dwordx2 s[2:3], s[4:5], 0x48
	s_waitcnt lgkmcnt(0)
	s_mul_i32 s10, s12, s6
	s_mul_hi_u32 s11, s12, s8
	s_add_i32 s10, s11, s10
	s_mul_i32 s11, s13, s8
	s_add_i32 s11, s10, s11
	s_mul_i32 s10, s12, s8
	s_lshl_b64 s[10:11], s[10:11], 1
	s_add_u32 s12, s0, s10
	s_addc_u32 s13, s1, s11
	s_mul_i32 s0, s14, s9
	s_mul_hi_u32 s1, s14, s7
	v_add3_u32 v6, v6, v8, v7
	v_sub_co_u32_e32 v5, vcc, v1, v5
	s_add_i32 s0, s1, s0
	s_mul_i32 s1, s15, s7
	v_subb_co_u32_e32 v6, vcc, v2, v6, vcc
	s_add_i32 s1, s0, s1
	s_mul_i32 s0, s14, s7
	v_mul_lo_u32 v7, s17, v3
	v_mul_lo_u32 v4, s16, v4
	v_mad_u64_u32 v[1:2], s[10:11], s16, v3, 0
	s_lshl_b64 s[0:1], s[0:1], 1
	s_add_u32 s10, s12, s0
	s_addc_u32 s0, s13, s1
	v_add3_u32 v2, v2, v4, v7
	v_mov_b32_e32 v7, s0
	v_mul_lo_u32 v8, s19, v5
	v_mul_lo_u32 v6, s18, v6
	v_mad_u64_u32 v[3:4], s[0:1], s18, v5, 0
	s_load_dwordx8 s[12:19], s[4:5], 0x70
	v_lshlrev_b64 v[1:2], 1, v[1:2]
	v_add3_u32 v4, v4, v6, v8
	v_add_co_u32_e32 v5, vcc, s10, v1
	s_waitcnt lgkmcnt(0)
	s_mul_i32 s0, s12, s6
	s_mul_hi_u32 s1, s12, s8
	s_add_i32 s0, s1, s0
	s_mul_i32 s1, s13, s8
	s_add_i32 s1, s0, s1
	s_mul_i32 s0, s12, s8
	s_lshl_b64 s[0:1], s[0:1], 1
	v_addc_co_u32_e32 v7, vcc, v7, v2, vcc
	v_lshlrev_b64 v[1:2], 1, v[3:4]
	s_add_u32 s4, s2, s0
	s_addc_u32 s5, s3, s1
	s_mul_i32 s0, s14, s9
	s_mul_hi_u32 s1, s14, s7
	v_add_co_u32_e32 v5, vcc, v5, v1
	s_add_i32 s0, s1, s0
	s_mul_i32 s1, s15, s7
	v_addc_co_u32_e32 v6, vcc, v7, v2, vcc
	s_add_i32 s1, s0, s1
	s_mul_i32 s0, s14, s7
	v_mul_lo_u32 v2, s17, v0
	v_mul_lo_u32 v3, s16, v11
	v_mad_u64_u32 v[0:1], s[2:3], s16, v0, 0
	s_lshl_b64 s[0:1], s[0:1], 1
	s_add_u32 s2, s4, s0
	s_addc_u32 s0, s5, s1
	v_add3_u32 v1, v1, v3, v2
	v_mov_b32_e32 v4, s0
	v_mul_lo_u32 v7, s19, v9
	v_mul_lo_u32 v8, s18, v10
	v_mad_u64_u32 v[2:3], s[0:1], s18, v9, 0
	v_lshlrev_b64 v[0:1], 1, v[0:1]
	s_movk_i32 s4, 0x7fff
	v_add_co_u32_e32 v9, vcc, s2, v0
	v_add3_u32 v3, v3, v8, v7
	v_addc_co_u32_e32 v4, vcc, v4, v1, vcc
	v_lshlrev_b64 v[0:1], 1, v[2:3]
	s_mov_b64 s[2:3], 0
	v_add_co_u32_e32 v0, vcc, v9, v0
	v_addc_co_u32_e32 v1, vcc, v4, v1, vcc
	v_and_b32_e32 v4, 2, v5
	v_sub_co_u32_e32 v2, vcc, 0, v4
	v_subb_co_u32_e64 v3, s[0:1], 0, 0, vcc
	global_load_ushort v7, v[0:1], off
	v_add_co_u32_e32 v0, vcc, v5, v2
	v_addc_co_u32_e32 v1, vcc, v6, v3, vcc
	global_load_dword v3, v[0:1], off
	v_mov_b32_e32 v5, 0
	v_cmp_eq_u64_e64 s[0:1], 0, v[4:5]
	s_mov_b32 s5, 0xffff0000
	v_mov_b32_e32 v5, 0x7fc0
	s_waitcnt vmcnt(1)
	v_lshlrev_b32_e32 v4, 16, v7
.LBB7_18:                               ; =>This Inner Loop Header: Depth=1
	s_mov_b64 vcc, s[0:1]
	s_waitcnt vmcnt(0)
	v_and_b32_e32 v2, 0xffff, v3
	v_cndmask_b32_sdwa v6, v3, v2, vcc dst_sel:WORD_1 dst_unused:UNUSED_PAD src0_sel:WORD_1 src1_sel:DWORD
	v_add_f32_e32 v6, v4, v6
	v_bfe_u32 v7, v6, 16, 1
	v_cmp_o_f32_e32 vcc, v6, v6
	v_add3_u32 v6, v6, v7, s4
	v_cndmask_b32_sdwa v6, v5, v6, vcc dst_sel:DWORD dst_unused:UNUSED_PAD src0_sel:DWORD src1_sel:WORD_1
	v_lshl_or_b32 v2, v6, 16, v2
	v_and_or_b32 v6, v3, s5, v6
	v_cndmask_b32_e64 v2, v2, v6, s[0:1]
	global_atomic_cmpswap v2, v[0:1], v[2:3], off glc
	s_waitcnt vmcnt(0)
	v_cmp_eq_u32_e32 vcc, v3, v2
	s_or_b64 s[2:3], vcc, s[2:3]
	v_mov_b32_e32 v3, v2
	s_andn2_b64 exec, exec, s[2:3]
	s_cbranch_execnz .LBB7_18
.LBB7_19:
	s_endpgm
.LBB7_20:
	s_xor_b64 s[0:1], exec, -1
	s_or_b64 s[14:15], s[2:3], exec
	s_trap 2
	s_branch .LBB7_11
	.section	.rodata,"a",@progbits
	.p2align	6, 0x0
	.amdhsa_kernel _ZN2at6native12_GLOBAL__N_145fractional_max_pool2d_backward_out_cuda_frameIN3c108BFloat16EEEvN5torch10headeronly6detail27GenericPackedTensorAccessorINS7_14TensorAccessorINS3_8ArrayRefIlEET_Lm3ENS6_16DefaultPtrTraitsElEENS_6detail16IndexBoundsCheckILm4ElEESC_Lm4ESD_lEENS8_INS9_ISB_KSC_Lm3ESD_lEESH_SJ_Lm4ESD_lEENS8_INS9_ISB_KlLm3ESD_lEESH_SM_Lm4ESD_lEE
		.amdhsa_group_segment_fixed_size 0
		.amdhsa_private_segment_fixed_size 0
		.amdhsa_kernarg_size 472
		.amdhsa_user_sgpr_count 6
		.amdhsa_user_sgpr_private_segment_buffer 1
		.amdhsa_user_sgpr_dispatch_ptr 0
		.amdhsa_user_sgpr_queue_ptr 0
		.amdhsa_user_sgpr_kernarg_segment_ptr 1
		.amdhsa_user_sgpr_dispatch_id 0
		.amdhsa_user_sgpr_flat_scratch_init 0
		.amdhsa_user_sgpr_private_segment_size 0
		.amdhsa_uses_dynamic_stack 0
		.amdhsa_system_sgpr_private_segment_wavefront_offset 0
		.amdhsa_system_sgpr_workgroup_id_x 1
		.amdhsa_system_sgpr_workgroup_id_y 1
		.amdhsa_system_sgpr_workgroup_id_z 1
		.amdhsa_system_sgpr_workgroup_info 0
		.amdhsa_system_vgpr_workitem_id 0
		.amdhsa_next_free_vgpr 16
		.amdhsa_next_free_sgpr 25
		.amdhsa_reserve_vcc 1
		.amdhsa_reserve_flat_scratch 0
		.amdhsa_float_round_mode_32 0
		.amdhsa_float_round_mode_16_64 0
		.amdhsa_float_denorm_mode_32 3
		.amdhsa_float_denorm_mode_16_64 3
		.amdhsa_dx10_clamp 1
		.amdhsa_ieee_mode 1
		.amdhsa_fp16_overflow 0
		.amdhsa_exception_fp_ieee_invalid_op 0
		.amdhsa_exception_fp_denorm_src 0
		.amdhsa_exception_fp_ieee_div_zero 0
		.amdhsa_exception_fp_ieee_overflow 0
		.amdhsa_exception_fp_ieee_underflow 0
		.amdhsa_exception_fp_ieee_inexact 0
		.amdhsa_exception_int_div_zero 0
	.end_amdhsa_kernel
	.section	.text._ZN2at6native12_GLOBAL__N_145fractional_max_pool2d_backward_out_cuda_frameIN3c108BFloat16EEEvN5torch10headeronly6detail27GenericPackedTensorAccessorINS7_14TensorAccessorINS3_8ArrayRefIlEET_Lm3ENS6_16DefaultPtrTraitsElEENS_6detail16IndexBoundsCheckILm4ElEESC_Lm4ESD_lEENS8_INS9_ISB_KSC_Lm3ESD_lEESH_SJ_Lm4ESD_lEENS8_INS9_ISB_KlLm3ESD_lEESH_SM_Lm4ESD_lEE,"axG",@progbits,_ZN2at6native12_GLOBAL__N_145fractional_max_pool2d_backward_out_cuda_frameIN3c108BFloat16EEEvN5torch10headeronly6detail27GenericPackedTensorAccessorINS7_14TensorAccessorINS3_8ArrayRefIlEET_Lm3ENS6_16DefaultPtrTraitsElEENS_6detail16IndexBoundsCheckILm4ElEESC_Lm4ESD_lEENS8_INS9_ISB_KSC_Lm3ESD_lEESH_SJ_Lm4ESD_lEENS8_INS9_ISB_KlLm3ESD_lEESH_SM_Lm4ESD_lEE,comdat
.Lfunc_end7:
	.size	_ZN2at6native12_GLOBAL__N_145fractional_max_pool2d_backward_out_cuda_frameIN3c108BFloat16EEEvN5torch10headeronly6detail27GenericPackedTensorAccessorINS7_14TensorAccessorINS3_8ArrayRefIlEET_Lm3ENS6_16DefaultPtrTraitsElEENS_6detail16IndexBoundsCheckILm4ElEESC_Lm4ESD_lEENS8_INS9_ISB_KSC_Lm3ESD_lEESH_SJ_Lm4ESD_lEENS8_INS9_ISB_KlLm3ESD_lEESH_SM_Lm4ESD_lEE, .Lfunc_end7-_ZN2at6native12_GLOBAL__N_145fractional_max_pool2d_backward_out_cuda_frameIN3c108BFloat16EEEvN5torch10headeronly6detail27GenericPackedTensorAccessorINS7_14TensorAccessorINS3_8ArrayRefIlEET_Lm3ENS6_16DefaultPtrTraitsElEENS_6detail16IndexBoundsCheckILm4ElEESC_Lm4ESD_lEENS8_INS9_ISB_KSC_Lm3ESD_lEESH_SJ_Lm4ESD_lEENS8_INS9_ISB_KlLm3ESD_lEESH_SM_Lm4ESD_lEE
                                        ; -- End function
	.set _ZN2at6native12_GLOBAL__N_145fractional_max_pool2d_backward_out_cuda_frameIN3c108BFloat16EEEvN5torch10headeronly6detail27GenericPackedTensorAccessorINS7_14TensorAccessorINS3_8ArrayRefIlEET_Lm3ENS6_16DefaultPtrTraitsElEENS_6detail16IndexBoundsCheckILm4ElEESC_Lm4ESD_lEENS8_INS9_ISB_KSC_Lm3ESD_lEESH_SJ_Lm4ESD_lEENS8_INS9_ISB_KlLm3ESD_lEESH_SM_Lm4ESD_lEE.num_vgpr, 16
	.set _ZN2at6native12_GLOBAL__N_145fractional_max_pool2d_backward_out_cuda_frameIN3c108BFloat16EEEvN5torch10headeronly6detail27GenericPackedTensorAccessorINS7_14TensorAccessorINS3_8ArrayRefIlEET_Lm3ENS6_16DefaultPtrTraitsElEENS_6detail16IndexBoundsCheckILm4ElEESC_Lm4ESD_lEENS8_INS9_ISB_KSC_Lm3ESD_lEESH_SJ_Lm4ESD_lEENS8_INS9_ISB_KlLm3ESD_lEESH_SM_Lm4ESD_lEE.num_agpr, 0
	.set _ZN2at6native12_GLOBAL__N_145fractional_max_pool2d_backward_out_cuda_frameIN3c108BFloat16EEEvN5torch10headeronly6detail27GenericPackedTensorAccessorINS7_14TensorAccessorINS3_8ArrayRefIlEET_Lm3ENS6_16DefaultPtrTraitsElEENS_6detail16IndexBoundsCheckILm4ElEESC_Lm4ESD_lEENS8_INS9_ISB_KSC_Lm3ESD_lEESH_SJ_Lm4ESD_lEENS8_INS9_ISB_KlLm3ESD_lEESH_SM_Lm4ESD_lEE.numbered_sgpr, 25
	.set _ZN2at6native12_GLOBAL__N_145fractional_max_pool2d_backward_out_cuda_frameIN3c108BFloat16EEEvN5torch10headeronly6detail27GenericPackedTensorAccessorINS7_14TensorAccessorINS3_8ArrayRefIlEET_Lm3ENS6_16DefaultPtrTraitsElEENS_6detail16IndexBoundsCheckILm4ElEESC_Lm4ESD_lEENS8_INS9_ISB_KSC_Lm3ESD_lEESH_SJ_Lm4ESD_lEENS8_INS9_ISB_KlLm3ESD_lEESH_SM_Lm4ESD_lEE.num_named_barrier, 0
	.set _ZN2at6native12_GLOBAL__N_145fractional_max_pool2d_backward_out_cuda_frameIN3c108BFloat16EEEvN5torch10headeronly6detail27GenericPackedTensorAccessorINS7_14TensorAccessorINS3_8ArrayRefIlEET_Lm3ENS6_16DefaultPtrTraitsElEENS_6detail16IndexBoundsCheckILm4ElEESC_Lm4ESD_lEENS8_INS9_ISB_KSC_Lm3ESD_lEESH_SJ_Lm4ESD_lEENS8_INS9_ISB_KlLm3ESD_lEESH_SM_Lm4ESD_lEE.private_seg_size, 0
	.set _ZN2at6native12_GLOBAL__N_145fractional_max_pool2d_backward_out_cuda_frameIN3c108BFloat16EEEvN5torch10headeronly6detail27GenericPackedTensorAccessorINS7_14TensorAccessorINS3_8ArrayRefIlEET_Lm3ENS6_16DefaultPtrTraitsElEENS_6detail16IndexBoundsCheckILm4ElEESC_Lm4ESD_lEENS8_INS9_ISB_KSC_Lm3ESD_lEESH_SJ_Lm4ESD_lEENS8_INS9_ISB_KlLm3ESD_lEESH_SM_Lm4ESD_lEE.uses_vcc, 1
	.set _ZN2at6native12_GLOBAL__N_145fractional_max_pool2d_backward_out_cuda_frameIN3c108BFloat16EEEvN5torch10headeronly6detail27GenericPackedTensorAccessorINS7_14TensorAccessorINS3_8ArrayRefIlEET_Lm3ENS6_16DefaultPtrTraitsElEENS_6detail16IndexBoundsCheckILm4ElEESC_Lm4ESD_lEENS8_INS9_ISB_KSC_Lm3ESD_lEESH_SJ_Lm4ESD_lEENS8_INS9_ISB_KlLm3ESD_lEESH_SM_Lm4ESD_lEE.uses_flat_scratch, 0
	.set _ZN2at6native12_GLOBAL__N_145fractional_max_pool2d_backward_out_cuda_frameIN3c108BFloat16EEEvN5torch10headeronly6detail27GenericPackedTensorAccessorINS7_14TensorAccessorINS3_8ArrayRefIlEET_Lm3ENS6_16DefaultPtrTraitsElEENS_6detail16IndexBoundsCheckILm4ElEESC_Lm4ESD_lEENS8_INS9_ISB_KSC_Lm3ESD_lEESH_SJ_Lm4ESD_lEENS8_INS9_ISB_KlLm3ESD_lEESH_SM_Lm4ESD_lEE.has_dyn_sized_stack, 0
	.set _ZN2at6native12_GLOBAL__N_145fractional_max_pool2d_backward_out_cuda_frameIN3c108BFloat16EEEvN5torch10headeronly6detail27GenericPackedTensorAccessorINS7_14TensorAccessorINS3_8ArrayRefIlEET_Lm3ENS6_16DefaultPtrTraitsElEENS_6detail16IndexBoundsCheckILm4ElEESC_Lm4ESD_lEENS8_INS9_ISB_KSC_Lm3ESD_lEESH_SJ_Lm4ESD_lEENS8_INS9_ISB_KlLm3ESD_lEESH_SM_Lm4ESD_lEE.has_recursion, 0
	.set _ZN2at6native12_GLOBAL__N_145fractional_max_pool2d_backward_out_cuda_frameIN3c108BFloat16EEEvN5torch10headeronly6detail27GenericPackedTensorAccessorINS7_14TensorAccessorINS3_8ArrayRefIlEET_Lm3ENS6_16DefaultPtrTraitsElEENS_6detail16IndexBoundsCheckILm4ElEESC_Lm4ESD_lEENS8_INS9_ISB_KSC_Lm3ESD_lEESH_SJ_Lm4ESD_lEENS8_INS9_ISB_KlLm3ESD_lEESH_SM_Lm4ESD_lEE.has_indirect_call, 0
	.section	.AMDGPU.csdata,"",@progbits
; Kernel info:
; codeLenInByte = 2648
; TotalNumSgprs: 29
; NumVgprs: 16
; ScratchSize: 0
; MemoryBound: 0
; FloatMode: 240
; IeeeMode: 1
; LDSByteSize: 0 bytes/workgroup (compile time only)
; SGPRBlocks: 3
; VGPRBlocks: 3
; NumSGPRsForWavesPerEU: 29
; NumVGPRsForWavesPerEU: 16
; Occupancy: 10
; WaveLimiterHint : 1
; COMPUTE_PGM_RSRC2:SCRATCH_EN: 0
; COMPUTE_PGM_RSRC2:USER_SGPR: 6
; COMPUTE_PGM_RSRC2:TRAP_HANDLER: 0
; COMPUTE_PGM_RSRC2:TGID_X_EN: 1
; COMPUTE_PGM_RSRC2:TGID_Y_EN: 1
; COMPUTE_PGM_RSRC2:TGID_Z_EN: 1
; COMPUTE_PGM_RSRC2:TIDIG_COMP_CNT: 0
	.section	.AMDGPU.gpr_maximums,"",@progbits
	.set amdgpu.max_num_vgpr, 0
	.set amdgpu.max_num_agpr, 0
	.set amdgpu.max_num_sgpr, 0
	.section	.AMDGPU.csdata,"",@progbits
	.type	__hip_cuid_d4325844ee43cb14,@object ; @__hip_cuid_d4325844ee43cb14
	.section	.bss,"aw",@nobits
	.globl	__hip_cuid_d4325844ee43cb14
__hip_cuid_d4325844ee43cb14:
	.byte	0                               ; 0x0
	.size	__hip_cuid_d4325844ee43cb14, 1

	.ident	"AMD clang version 22.0.0git (https://github.com/RadeonOpenCompute/llvm-project roc-7.2.4 26084 f58b06dce1f9c15707c5f808fd002e18c2accf7e)"
	.section	".note.GNU-stack","",@progbits
	.addrsig
	.addrsig_sym __hip_cuid_d4325844ee43cb14
	.amdgpu_metadata
---
amdhsa.kernels:
  - .args:
      - .offset:         0
        .size:           72
        .value_kind:     by_value
      - .offset:         72
        .size:           72
        .value_kind:     by_value
      - .offset:         144
        .size:           72
        .value_kind:     by_value
      - .offset:         216
        .size:           56
        .value_kind:     by_value
      - .offset:         272
        .size:           4
        .value_kind:     by_value
      - .offset:         276
        .size:           4
        .value_kind:     by_value
      - .offset:         280
        .size:           4
        .value_kind:     hidden_block_count_x
      - .offset:         284
        .size:           4
        .value_kind:     hidden_block_count_y
      - .offset:         288
        .size:           4
        .value_kind:     hidden_block_count_z
      - .offset:         292
        .size:           2
        .value_kind:     hidden_group_size_x
      - .offset:         294
        .size:           2
        .value_kind:     hidden_group_size_y
      - .offset:         296
        .size:           2
        .value_kind:     hidden_group_size_z
      - .offset:         298
        .size:           2
        .value_kind:     hidden_remainder_x
      - .offset:         300
        .size:           2
        .value_kind:     hidden_remainder_y
      - .offset:         302
        .size:           2
        .value_kind:     hidden_remainder_z
      - .offset:         320
        .size:           8
        .value_kind:     hidden_global_offset_x
      - .offset:         328
        .size:           8
        .value_kind:     hidden_global_offset_y
      - .offset:         336
        .size:           8
        .value_kind:     hidden_global_offset_z
      - .offset:         344
        .size:           2
        .value_kind:     hidden_grid_dims
    .group_segment_fixed_size: 0
    .kernarg_segment_align: 8
    .kernarg_segment_size: 536
    .language:       OpenCL C
    .language_version:
      - 2
      - 0
    .max_flat_workgroup_size: 1024
    .name:           _ZN2at6native12_GLOBAL__N_136fractional_max_pool2d_out_cuda_frameIdEEvN5torch10headeronly6detail27GenericPackedTensorAccessorINS5_14TensorAccessorIN3c108ArrayRefIlEET_Lm3ENS4_16DefaultPtrTraitsElEENS_6detail16IndexBoundsCheckILm4ElEESB_Lm4ESC_lEENS6_INS7_ISA_lLm3ESC_lEESG_lLm4ESC_lEENS6_INS7_ISA_KSB_Lm3ESC_lEESG_SK_Lm4ESC_lEENS6_INS7_ISA_SK_Lm2ESC_lEENSF_ILm3ElEESK_Lm3ESC_lEEii
    .private_segment_fixed_size: 0
    .sgpr_count:     32
    .sgpr_spill_count: 0
    .symbol:         _ZN2at6native12_GLOBAL__N_136fractional_max_pool2d_out_cuda_frameIdEEvN5torch10headeronly6detail27GenericPackedTensorAccessorINS5_14TensorAccessorIN3c108ArrayRefIlEET_Lm3ENS4_16DefaultPtrTraitsElEENS_6detail16IndexBoundsCheckILm4ElEESB_Lm4ESC_lEENS6_INS7_ISA_lLm3ESC_lEESG_lLm4ESC_lEENS6_INS7_ISA_KSB_Lm3ESC_lEESG_SK_Lm4ESC_lEENS6_INS7_ISA_SK_Lm2ESC_lEENSF_ILm3ElEESK_Lm3ESC_lEEii.kd
    .uniform_work_group_size: 1
    .uses_dynamic_stack: false
    .vgpr_count:     23
    .vgpr_spill_count: 0
    .wavefront_size: 64
  - .args:
      - .offset:         0
        .size:           72
        .value_kind:     by_value
      - .offset:         72
        .size:           72
        .value_kind:     by_value
      - .offset:         144
        .size:           72
        .value_kind:     by_value
      - .offset:         216
        .size:           56
        .value_kind:     by_value
      - .offset:         272
        .size:           4
        .value_kind:     by_value
      - .offset:         276
        .size:           4
        .value_kind:     by_value
      - .offset:         280
        .size:           4
        .value_kind:     hidden_block_count_x
      - .offset:         284
        .size:           4
        .value_kind:     hidden_block_count_y
      - .offset:         288
        .size:           4
        .value_kind:     hidden_block_count_z
      - .offset:         292
        .size:           2
        .value_kind:     hidden_group_size_x
      - .offset:         294
        .size:           2
        .value_kind:     hidden_group_size_y
      - .offset:         296
        .size:           2
        .value_kind:     hidden_group_size_z
      - .offset:         298
        .size:           2
        .value_kind:     hidden_remainder_x
      - .offset:         300
        .size:           2
        .value_kind:     hidden_remainder_y
      - .offset:         302
        .size:           2
        .value_kind:     hidden_remainder_z
      - .offset:         320
        .size:           8
        .value_kind:     hidden_global_offset_x
      - .offset:         328
        .size:           8
        .value_kind:     hidden_global_offset_y
      - .offset:         336
        .size:           8
        .value_kind:     hidden_global_offset_z
      - .offset:         344
        .size:           2
        .value_kind:     hidden_grid_dims
    .group_segment_fixed_size: 0
    .kernarg_segment_align: 8
    .kernarg_segment_size: 536
    .language:       OpenCL C
    .language_version:
      - 2
      - 0
    .max_flat_workgroup_size: 1024
    .name:           _ZN2at6native12_GLOBAL__N_136fractional_max_pool2d_out_cuda_frameIfEEvN5torch10headeronly6detail27GenericPackedTensorAccessorINS5_14TensorAccessorIN3c108ArrayRefIlEET_Lm3ENS4_16DefaultPtrTraitsElEENS_6detail16IndexBoundsCheckILm4ElEESB_Lm4ESC_lEENS6_INS7_ISA_lLm3ESC_lEESG_lLm4ESC_lEENS6_INS7_ISA_KSB_Lm3ESC_lEESG_SK_Lm4ESC_lEENS6_INS7_ISA_SK_Lm2ESC_lEENSF_ILm3ElEESK_Lm3ESC_lEEii
    .private_segment_fixed_size: 0
    .sgpr_count:     32
    .sgpr_spill_count: 0
    .symbol:         _ZN2at6native12_GLOBAL__N_136fractional_max_pool2d_out_cuda_frameIfEEvN5torch10headeronly6detail27GenericPackedTensorAccessorINS5_14TensorAccessorIN3c108ArrayRefIlEET_Lm3ENS4_16DefaultPtrTraitsElEENS_6detail16IndexBoundsCheckILm4ElEESB_Lm4ESC_lEENS6_INS7_ISA_lLm3ESC_lEESG_lLm4ESC_lEENS6_INS7_ISA_KSB_Lm3ESC_lEESG_SK_Lm4ESC_lEENS6_INS7_ISA_SK_Lm2ESC_lEENSF_ILm3ElEESK_Lm3ESC_lEEii.kd
    .uniform_work_group_size: 1
    .uses_dynamic_stack: false
    .vgpr_count:     20
    .vgpr_spill_count: 0
    .wavefront_size: 64
  - .args:
      - .offset:         0
        .size:           72
        .value_kind:     by_value
      - .offset:         72
        .size:           72
        .value_kind:     by_value
      - .offset:         144
        .size:           72
        .value_kind:     by_value
      - .offset:         216
        .size:           56
        .value_kind:     by_value
      - .offset:         272
        .size:           4
        .value_kind:     by_value
      - .offset:         276
        .size:           4
        .value_kind:     by_value
      - .offset:         280
        .size:           4
        .value_kind:     hidden_block_count_x
      - .offset:         284
        .size:           4
        .value_kind:     hidden_block_count_y
      - .offset:         288
        .size:           4
        .value_kind:     hidden_block_count_z
      - .offset:         292
        .size:           2
        .value_kind:     hidden_group_size_x
      - .offset:         294
        .size:           2
        .value_kind:     hidden_group_size_y
      - .offset:         296
        .size:           2
        .value_kind:     hidden_group_size_z
      - .offset:         298
        .size:           2
        .value_kind:     hidden_remainder_x
      - .offset:         300
        .size:           2
        .value_kind:     hidden_remainder_y
      - .offset:         302
        .size:           2
        .value_kind:     hidden_remainder_z
      - .offset:         320
        .size:           8
        .value_kind:     hidden_global_offset_x
      - .offset:         328
        .size:           8
        .value_kind:     hidden_global_offset_y
      - .offset:         336
        .size:           8
        .value_kind:     hidden_global_offset_z
      - .offset:         344
        .size:           2
        .value_kind:     hidden_grid_dims
    .group_segment_fixed_size: 0
    .kernarg_segment_align: 8
    .kernarg_segment_size: 536
    .language:       OpenCL C
    .language_version:
      - 2
      - 0
    .max_flat_workgroup_size: 1024
    .name:           _ZN2at6native12_GLOBAL__N_136fractional_max_pool2d_out_cuda_frameIN3c104HalfEEEvN5torch10headeronly6detail27GenericPackedTensorAccessorINS7_14TensorAccessorINS3_8ArrayRefIlEET_Lm3ENS6_16DefaultPtrTraitsElEENS_6detail16IndexBoundsCheckILm4ElEESC_Lm4ESD_lEENS8_INS9_ISB_lLm3ESD_lEESH_lLm4ESD_lEENS8_INS9_ISB_KSC_Lm3ESD_lEESH_SL_Lm4ESD_lEENS8_INS9_ISB_SL_Lm2ESD_lEENSG_ILm3ElEESL_Lm3ESD_lEEii
    .private_segment_fixed_size: 0
    .sgpr_count:     32
    .sgpr_spill_count: 0
    .symbol:         _ZN2at6native12_GLOBAL__N_136fractional_max_pool2d_out_cuda_frameIN3c104HalfEEEvN5torch10headeronly6detail27GenericPackedTensorAccessorINS7_14TensorAccessorINS3_8ArrayRefIlEET_Lm3ENS6_16DefaultPtrTraitsElEENS_6detail16IndexBoundsCheckILm4ElEESC_Lm4ESD_lEENS8_INS9_ISB_lLm3ESD_lEESH_lLm4ESD_lEENS8_INS9_ISB_KSC_Lm3ESD_lEESH_SL_Lm4ESD_lEENS8_INS9_ISB_SL_Lm2ESD_lEENSG_ILm3ElEESL_Lm3ESD_lEEii.kd
    .uniform_work_group_size: 1
    .uses_dynamic_stack: false
    .vgpr_count:     20
    .vgpr_spill_count: 0
    .wavefront_size: 64
  - .args:
      - .offset:         0
        .size:           72
        .value_kind:     by_value
      - .offset:         72
        .size:           72
        .value_kind:     by_value
      - .offset:         144
        .size:           72
        .value_kind:     by_value
      - .offset:         216
        .size:           56
        .value_kind:     by_value
      - .offset:         272
        .size:           4
        .value_kind:     by_value
      - .offset:         276
        .size:           4
        .value_kind:     by_value
      - .offset:         280
        .size:           4
        .value_kind:     hidden_block_count_x
      - .offset:         284
        .size:           4
        .value_kind:     hidden_block_count_y
      - .offset:         288
        .size:           4
        .value_kind:     hidden_block_count_z
      - .offset:         292
        .size:           2
        .value_kind:     hidden_group_size_x
      - .offset:         294
        .size:           2
        .value_kind:     hidden_group_size_y
      - .offset:         296
        .size:           2
        .value_kind:     hidden_group_size_z
      - .offset:         298
        .size:           2
        .value_kind:     hidden_remainder_x
      - .offset:         300
        .size:           2
        .value_kind:     hidden_remainder_y
      - .offset:         302
        .size:           2
        .value_kind:     hidden_remainder_z
      - .offset:         320
        .size:           8
        .value_kind:     hidden_global_offset_x
      - .offset:         328
        .size:           8
        .value_kind:     hidden_global_offset_y
      - .offset:         336
        .size:           8
        .value_kind:     hidden_global_offset_z
      - .offset:         344
        .size:           2
        .value_kind:     hidden_grid_dims
    .group_segment_fixed_size: 0
    .kernarg_segment_align: 8
    .kernarg_segment_size: 536
    .language:       OpenCL C
    .language_version:
      - 2
      - 0
    .max_flat_workgroup_size: 1024
    .name:           _ZN2at6native12_GLOBAL__N_136fractional_max_pool2d_out_cuda_frameIN3c108BFloat16EEEvN5torch10headeronly6detail27GenericPackedTensorAccessorINS7_14TensorAccessorINS3_8ArrayRefIlEET_Lm3ENS6_16DefaultPtrTraitsElEENS_6detail16IndexBoundsCheckILm4ElEESC_Lm4ESD_lEENS8_INS9_ISB_lLm3ESD_lEESH_lLm4ESD_lEENS8_INS9_ISB_KSC_Lm3ESD_lEESH_SL_Lm4ESD_lEENS8_INS9_ISB_SL_Lm2ESD_lEENSG_ILm3ElEESL_Lm3ESD_lEEii
    .private_segment_fixed_size: 0
    .sgpr_count:     32
    .sgpr_spill_count: 0
    .symbol:         _ZN2at6native12_GLOBAL__N_136fractional_max_pool2d_out_cuda_frameIN3c108BFloat16EEEvN5torch10headeronly6detail27GenericPackedTensorAccessorINS7_14TensorAccessorINS3_8ArrayRefIlEET_Lm3ENS6_16DefaultPtrTraitsElEENS_6detail16IndexBoundsCheckILm4ElEESC_Lm4ESD_lEENS8_INS9_ISB_lLm3ESD_lEESH_lLm4ESD_lEENS8_INS9_ISB_KSC_Lm3ESD_lEESH_SL_Lm4ESD_lEENS8_INS9_ISB_SL_Lm2ESD_lEENSG_ILm3ElEESL_Lm3ESD_lEEii.kd
    .uniform_work_group_size: 1
    .uses_dynamic_stack: false
    .vgpr_count:     21
    .vgpr_spill_count: 0
    .wavefront_size: 64
  - .args:
      - .offset:         0
        .size:           72
        .value_kind:     by_value
      - .offset:         72
        .size:           72
        .value_kind:     by_value
      - .offset:         144
        .size:           72
        .value_kind:     by_value
      - .offset:         216
        .size:           4
        .value_kind:     hidden_block_count_x
      - .offset:         220
        .size:           4
        .value_kind:     hidden_block_count_y
      - .offset:         224
        .size:           4
        .value_kind:     hidden_block_count_z
      - .offset:         228
        .size:           2
        .value_kind:     hidden_group_size_x
      - .offset:         230
        .size:           2
        .value_kind:     hidden_group_size_y
      - .offset:         232
        .size:           2
        .value_kind:     hidden_group_size_z
      - .offset:         234
        .size:           2
        .value_kind:     hidden_remainder_x
      - .offset:         236
        .size:           2
        .value_kind:     hidden_remainder_y
      - .offset:         238
        .size:           2
        .value_kind:     hidden_remainder_z
      - .offset:         256
        .size:           8
        .value_kind:     hidden_global_offset_x
      - .offset:         264
        .size:           8
        .value_kind:     hidden_global_offset_y
      - .offset:         272
        .size:           8
        .value_kind:     hidden_global_offset_z
      - .offset:         280
        .size:           2
        .value_kind:     hidden_grid_dims
    .group_segment_fixed_size: 0
    .kernarg_segment_align: 8
    .kernarg_segment_size: 472
    .language:       OpenCL C
    .language_version:
      - 2
      - 0
    .max_flat_workgroup_size: 1024
    .name:           _ZN2at6native12_GLOBAL__N_145fractional_max_pool2d_backward_out_cuda_frameIdEEvN5torch10headeronly6detail27GenericPackedTensorAccessorINS5_14TensorAccessorIN3c108ArrayRefIlEET_Lm3ENS4_16DefaultPtrTraitsElEENS_6detail16IndexBoundsCheckILm4ElEESB_Lm4ESC_lEENS6_INS7_ISA_KSB_Lm3ESC_lEESG_SI_Lm4ESC_lEENS6_INS7_ISA_KlLm3ESC_lEESG_SL_Lm4ESC_lEE
    .private_segment_fixed_size: 0
    .sgpr_count:     29
    .sgpr_spill_count: 0
    .symbol:         _ZN2at6native12_GLOBAL__N_145fractional_max_pool2d_backward_out_cuda_frameIdEEvN5torch10headeronly6detail27GenericPackedTensorAccessorINS5_14TensorAccessorIN3c108ArrayRefIlEET_Lm3ENS4_16DefaultPtrTraitsElEENS_6detail16IndexBoundsCheckILm4ElEESB_Lm4ESC_lEENS6_INS7_ISA_KSB_Lm3ESC_lEESG_SI_Lm4ESC_lEENS6_INS7_ISA_KlLm3ESC_lEESG_SL_Lm4ESC_lEE.kd
    .uniform_work_group_size: 1
    .uses_dynamic_stack: false
    .vgpr_count:     16
    .vgpr_spill_count: 0
    .wavefront_size: 64
  - .args:
      - .offset:         0
        .size:           72
        .value_kind:     by_value
      - .offset:         72
        .size:           72
        .value_kind:     by_value
      - .offset:         144
        .size:           72
        .value_kind:     by_value
      - .offset:         216
        .size:           4
        .value_kind:     hidden_block_count_x
      - .offset:         220
        .size:           4
        .value_kind:     hidden_block_count_y
      - .offset:         224
        .size:           4
        .value_kind:     hidden_block_count_z
      - .offset:         228
        .size:           2
        .value_kind:     hidden_group_size_x
      - .offset:         230
        .size:           2
        .value_kind:     hidden_group_size_y
      - .offset:         232
        .size:           2
        .value_kind:     hidden_group_size_z
      - .offset:         234
        .size:           2
        .value_kind:     hidden_remainder_x
      - .offset:         236
        .size:           2
        .value_kind:     hidden_remainder_y
      - .offset:         238
        .size:           2
        .value_kind:     hidden_remainder_z
      - .offset:         256
        .size:           8
        .value_kind:     hidden_global_offset_x
      - .offset:         264
        .size:           8
        .value_kind:     hidden_global_offset_y
      - .offset:         272
        .size:           8
        .value_kind:     hidden_global_offset_z
      - .offset:         280
        .size:           2
        .value_kind:     hidden_grid_dims
    .group_segment_fixed_size: 0
    .kernarg_segment_align: 8
    .kernarg_segment_size: 472
    .language:       OpenCL C
    .language_version:
      - 2
      - 0
    .max_flat_workgroup_size: 1024
    .name:           _ZN2at6native12_GLOBAL__N_145fractional_max_pool2d_backward_out_cuda_frameIfEEvN5torch10headeronly6detail27GenericPackedTensorAccessorINS5_14TensorAccessorIN3c108ArrayRefIlEET_Lm3ENS4_16DefaultPtrTraitsElEENS_6detail16IndexBoundsCheckILm4ElEESB_Lm4ESC_lEENS6_INS7_ISA_KSB_Lm3ESC_lEESG_SI_Lm4ESC_lEENS6_INS7_ISA_KlLm3ESC_lEESG_SL_Lm4ESC_lEE
    .private_segment_fixed_size: 0
    .sgpr_count:     29
    .sgpr_spill_count: 0
    .symbol:         _ZN2at6native12_GLOBAL__N_145fractional_max_pool2d_backward_out_cuda_frameIfEEvN5torch10headeronly6detail27GenericPackedTensorAccessorINS5_14TensorAccessorIN3c108ArrayRefIlEET_Lm3ENS4_16DefaultPtrTraitsElEENS_6detail16IndexBoundsCheckILm4ElEESB_Lm4ESC_lEENS6_INS7_ISA_KSB_Lm3ESC_lEESG_SI_Lm4ESC_lEENS6_INS7_ISA_KlLm3ESC_lEESG_SL_Lm4ESC_lEE.kd
    .uniform_work_group_size: 1
    .uses_dynamic_stack: false
    .vgpr_count:     16
    .vgpr_spill_count: 0
    .wavefront_size: 64
  - .args:
      - .offset:         0
        .size:           72
        .value_kind:     by_value
      - .offset:         72
        .size:           72
        .value_kind:     by_value
      - .offset:         144
        .size:           72
        .value_kind:     by_value
      - .offset:         216
        .size:           4
        .value_kind:     hidden_block_count_x
      - .offset:         220
        .size:           4
        .value_kind:     hidden_block_count_y
      - .offset:         224
        .size:           4
        .value_kind:     hidden_block_count_z
      - .offset:         228
        .size:           2
        .value_kind:     hidden_group_size_x
      - .offset:         230
        .size:           2
        .value_kind:     hidden_group_size_y
      - .offset:         232
        .size:           2
        .value_kind:     hidden_group_size_z
      - .offset:         234
        .size:           2
        .value_kind:     hidden_remainder_x
      - .offset:         236
        .size:           2
        .value_kind:     hidden_remainder_y
      - .offset:         238
        .size:           2
        .value_kind:     hidden_remainder_z
      - .offset:         256
        .size:           8
        .value_kind:     hidden_global_offset_x
      - .offset:         264
        .size:           8
        .value_kind:     hidden_global_offset_y
      - .offset:         272
        .size:           8
        .value_kind:     hidden_global_offset_z
      - .offset:         280
        .size:           2
        .value_kind:     hidden_grid_dims
    .group_segment_fixed_size: 0
    .kernarg_segment_align: 8
    .kernarg_segment_size: 472
    .language:       OpenCL C
    .language_version:
      - 2
      - 0
    .max_flat_workgroup_size: 1024
    .name:           _ZN2at6native12_GLOBAL__N_145fractional_max_pool2d_backward_out_cuda_frameIN3c104HalfEEEvN5torch10headeronly6detail27GenericPackedTensorAccessorINS7_14TensorAccessorINS3_8ArrayRefIlEET_Lm3ENS6_16DefaultPtrTraitsElEENS_6detail16IndexBoundsCheckILm4ElEESC_Lm4ESD_lEENS8_INS9_ISB_KSC_Lm3ESD_lEESH_SJ_Lm4ESD_lEENS8_INS9_ISB_KlLm3ESD_lEESH_SM_Lm4ESD_lEE
    .private_segment_fixed_size: 0
    .sgpr_count:     29
    .sgpr_spill_count: 0
    .symbol:         _ZN2at6native12_GLOBAL__N_145fractional_max_pool2d_backward_out_cuda_frameIN3c104HalfEEEvN5torch10headeronly6detail27GenericPackedTensorAccessorINS7_14TensorAccessorINS3_8ArrayRefIlEET_Lm3ENS6_16DefaultPtrTraitsElEENS_6detail16IndexBoundsCheckILm4ElEESC_Lm4ESD_lEENS8_INS9_ISB_KSC_Lm3ESD_lEESH_SJ_Lm4ESD_lEENS8_INS9_ISB_KlLm3ESD_lEESH_SM_Lm4ESD_lEE.kd
    .uniform_work_group_size: 1
    .uses_dynamic_stack: false
    .vgpr_count:     16
    .vgpr_spill_count: 0
    .wavefront_size: 64
  - .args:
      - .offset:         0
        .size:           72
        .value_kind:     by_value
      - .offset:         72
        .size:           72
        .value_kind:     by_value
      - .offset:         144
        .size:           72
        .value_kind:     by_value
      - .offset:         216
        .size:           4
        .value_kind:     hidden_block_count_x
      - .offset:         220
        .size:           4
        .value_kind:     hidden_block_count_y
      - .offset:         224
        .size:           4
        .value_kind:     hidden_block_count_z
      - .offset:         228
        .size:           2
        .value_kind:     hidden_group_size_x
      - .offset:         230
        .size:           2
        .value_kind:     hidden_group_size_y
      - .offset:         232
        .size:           2
        .value_kind:     hidden_group_size_z
      - .offset:         234
        .size:           2
        .value_kind:     hidden_remainder_x
      - .offset:         236
        .size:           2
        .value_kind:     hidden_remainder_y
      - .offset:         238
        .size:           2
        .value_kind:     hidden_remainder_z
      - .offset:         256
        .size:           8
        .value_kind:     hidden_global_offset_x
      - .offset:         264
        .size:           8
        .value_kind:     hidden_global_offset_y
      - .offset:         272
        .size:           8
        .value_kind:     hidden_global_offset_z
      - .offset:         280
        .size:           2
        .value_kind:     hidden_grid_dims
    .group_segment_fixed_size: 0
    .kernarg_segment_align: 8
    .kernarg_segment_size: 472
    .language:       OpenCL C
    .language_version:
      - 2
      - 0
    .max_flat_workgroup_size: 1024
    .name:           _ZN2at6native12_GLOBAL__N_145fractional_max_pool2d_backward_out_cuda_frameIN3c108BFloat16EEEvN5torch10headeronly6detail27GenericPackedTensorAccessorINS7_14TensorAccessorINS3_8ArrayRefIlEET_Lm3ENS6_16DefaultPtrTraitsElEENS_6detail16IndexBoundsCheckILm4ElEESC_Lm4ESD_lEENS8_INS9_ISB_KSC_Lm3ESD_lEESH_SJ_Lm4ESD_lEENS8_INS9_ISB_KlLm3ESD_lEESH_SM_Lm4ESD_lEE
    .private_segment_fixed_size: 0
    .sgpr_count:     29
    .sgpr_spill_count: 0
    .symbol:         _ZN2at6native12_GLOBAL__N_145fractional_max_pool2d_backward_out_cuda_frameIN3c108BFloat16EEEvN5torch10headeronly6detail27GenericPackedTensorAccessorINS7_14TensorAccessorINS3_8ArrayRefIlEET_Lm3ENS6_16DefaultPtrTraitsElEENS_6detail16IndexBoundsCheckILm4ElEESC_Lm4ESD_lEENS8_INS9_ISB_KSC_Lm3ESD_lEESH_SJ_Lm4ESD_lEENS8_INS9_ISB_KlLm3ESD_lEESH_SM_Lm4ESD_lEE.kd
    .uniform_work_group_size: 1
    .uses_dynamic_stack: false
    .vgpr_count:     16
    .vgpr_spill_count: 0
    .wavefront_size: 64
amdhsa.target:   amdgcn-amd-amdhsa--gfx906
amdhsa.version:
  - 1
  - 2
...

	.end_amdgpu_metadata
